;; amdgpu-corpus repo=ROCm/rocFFT kind=compiled arch=gfx950 opt=O3
	.text
	.amdgcn_target "amdgcn-amd-amdhsa--gfx950"
	.amdhsa_code_object_version 6
	.protected	bluestein_single_back_len1716_dim1_sp_op_CI_CI ; -- Begin function bluestein_single_back_len1716_dim1_sp_op_CI_CI
	.globl	bluestein_single_back_len1716_dim1_sp_op_CI_CI
	.p2align	8
	.type	bluestein_single_back_len1716_dim1_sp_op_CI_CI,@function
bluestein_single_back_len1716_dim1_sp_op_CI_CI: ; @bluestein_single_back_len1716_dim1_sp_op_CI_CI
; %bb.0:
	s_load_dwordx4 s[12:15], s[0:1], 0x28
	v_mul_u32_u24_e32 v1, 0x1a5, v0
	v_mov_b32_e32 v63, 0
	v_add_u32_sdwa v64, s2, v1 dst_sel:DWORD dst_unused:UNUSED_PAD src0_sel:DWORD src1_sel:WORD_1
	v_mov_b32_e32 v65, v63
	s_waitcnt lgkmcnt(0)
	v_cmp_gt_u64_e32 vcc, s[12:13], v[64:65]
	s_and_saveexec_b64 s[2:3], vcc
	s_cbranch_execz .LBB0_31
; %bb.1:
	s_load_dwordx2 s[12:13], s[0:1], 0x0
	s_load_dwordx2 s[16:17], s[0:1], 0x38
	s_movk_i32 s2, 0x9c
	v_mul_lo_u16_sdwa v1, v1, s2 dst_sel:DWORD dst_unused:UNUSED_PAD src0_sel:WORD_1 src1_sel:DWORD
	v_sub_u16_e32 v62, v0, v1
	s_movk_i32 s2, 0x84
	v_cmp_gt_u16_e64 s[6:7], s2, v62
	v_lshlrev_b32_e32 v60, 3, v62
	s_and_saveexec_b64 s[2:3], s[6:7]
	s_cbranch_execz .LBB0_3
; %bb.2:
	s_load_dwordx2 s[4:5], s[0:1], 0x18
	v_mov_b32_e32 v0, s14
	v_mov_b32_e32 v1, s15
	;; [unrolled: 1-line block ×4, first 2 shown]
	s_waitcnt lgkmcnt(0)
	s_load_dwordx4 s[8:11], s[4:5], 0x0
	s_waitcnt lgkmcnt(0)
	v_mad_u64_u32 v[2:3], s[4:5], s10, v64, 0
	v_mad_u64_u32 v[4:5], s[4:5], s8, v62, 0
	v_mov_b32_e32 v6, v3
	v_mov_b32_e32 v8, v5
	v_mad_u64_u32 v[6:7], s[4:5], s11, v64, v[6:7]
	v_mov_b32_e32 v3, v6
	v_mad_u64_u32 v[6:7], s[4:5], s9, v62, v[8:9]
	v_mov_b32_e32 v5, v6
	v_lshl_add_u64 v[0:1], v[2:3], 3, v[0:1]
	v_lshl_add_u64 v[0:1], v[4:5], 3, v[0:1]
	global_load_dwordx2 v[2:3], v[0:1], off
	v_mad_u64_u32 v[0:1], s[4:5], s8, v54, v[0:1]
	s_mulk_i32 s9, 0x420
	v_add_u32_e32 v1, s9, v1
	v_mad_u64_u32 v[6:7], s[4:5], s8, v54, v[0:1]
	v_add_u32_e32 v7, s9, v7
	v_mad_u64_u32 v[14:15], s[4:5], s8, v54, v[6:7]
	;; [unrolled: 2-line block ×3, first 2 shown]
	v_lshl_add_u64 v[4:5], s[12:13], 0, v[60:61]
	v_add_u32_e32 v19, s9, v19
	s_movk_i32 s4, 0x1000
	global_load_dwordx2 v[8:9], v60, s[12:13]
	global_load_dwordx2 v[10:11], v60, s[12:13] offset:1056
	global_load_dwordx2 v[12:13], v60, s[12:13] offset:2112
	;; [unrolled: 1-line block ×3, first 2 shown]
	global_load_dwordx2 v[20:21], v[0:1], off
	global_load_dwordx2 v[22:23], v[6:7], off
	global_load_dwordx2 v[24:25], v[14:15], off
	global_load_dwordx2 v[26:27], v[18:19], off
	v_add_co_u32_e32 v0, vcc, s4, v4
	v_mad_u64_u32 v[6:7], s[4:5], s8, v54, v[18:19]
	v_add_u32_e32 v7, s9, v7
	global_load_dwordx2 v[14:15], v[6:7], off
	v_mad_u64_u32 v[6:7], s[4:5], s8, v54, v[6:7]
	v_add_u32_e32 v7, s9, v7
	global_load_dwordx2 v[18:19], v[6:7], off
	v_mad_u64_u32 v[6:7], s[4:5], s8, v54, v[6:7]
	v_addc_co_u32_e32 v1, vcc, 0, v5, vcc
	v_add_u32_e32 v7, s9, v7
	global_load_dwordx2 v[28:29], v[0:1], off offset:128
	global_load_dwordx2 v[30:31], v[6:7], off
	global_load_dwordx2 v[32:33], v[0:1], off offset:1184
	global_load_dwordx2 v[34:35], v[0:1], off offset:2240
	;; [unrolled: 1-line block ×3, first 2 shown]
	v_mad_u64_u32 v[0:1], s[4:5], s8, v54, v[6:7]
	v_add_u32_e32 v1, s9, v1
	s_movk_i32 s4, 0x2000
	global_load_dwordx2 v[6:7], v[0:1], off
	v_add_co_u32_e32 v38, vcc, s4, v4
	v_mad_u64_u32 v[0:1], s[4:5], s8, v54, v[0:1]
	v_add_u32_e32 v1, s9, v1
	v_addc_co_u32_e32 v39, vcc, 0, v5, vcc
	global_load_dwordx2 v[40:41], v[0:1], off
	global_load_dwordx2 v[42:43], v[38:39], off offset:256
	v_mad_u64_u32 v[0:1], s[4:5], s8, v54, v[0:1]
	v_add_u32_e32 v1, s9, v1
	global_load_dwordx2 v[44:45], v[0:1], off
	global_load_dwordx2 v[46:47], v[38:39], off offset:1312
	v_mad_u64_u32 v[0:1], s[4:5], s8, v54, v[0:1]
	v_add_u32_e32 v1, s9, v1
	global_load_dwordx2 v[48:49], v[0:1], off
	global_load_dwordx2 v[50:51], v[38:39], off offset:2368
	global_load_dwordx2 v[52:53], v[38:39], off offset:3424
	v_mad_u64_u32 v[0:1], s[4:5], s8, v54, v[0:1]
	v_add_co_u32_e32 v4, vcc, 0x3000, v4
	v_add_u32_e32 v1, s9, v1
	s_nop 0
	v_addc_co_u32_e32 v5, vcc, 0, v5, vcc
	global_load_dwordx2 v[0:1], v[0:1], off
	s_waitcnt vmcnt(23)
	v_mul_f32_e32 v38, v2, v9
	global_load_dwordx2 v[4:5], v[4:5], off offset:384
	v_fma_f32 v39, v3, v8, -v38
	v_mul_f32_e32 v38, v3, v9
	v_fmac_f32_e32 v38, v2, v8
	s_waitcnt vmcnt(20)
	v_mul_f32_e32 v2, v21, v11
	v_mul_f32_e32 v3, v20, v11
	v_fmac_f32_e32 v2, v20, v10
	v_fma_f32 v3, v21, v10, -v3
	ds_write2_b64 v60, v[38:39], v[2:3] offset1:132
	s_waitcnt vmcnt(19)
	v_mul_f32_e32 v2, v23, v13
	v_mul_f32_e32 v3, v22, v13
	s_waitcnt vmcnt(18)
	v_mul_f32_e32 v8, v25, v17
	v_mul_f32_e32 v9, v24, v17
	v_fmac_f32_e32 v2, v22, v12
	v_fma_f32 v3, v23, v12, -v3
	v_fmac_f32_e32 v8, v24, v16
	v_fma_f32 v9, v25, v16, -v9
	v_add_u32_e32 v10, 0x800, v60
	ds_write2_b64 v10, v[2:3], v[8:9] offset0:8 offset1:140
	s_waitcnt vmcnt(14)
	v_mul_f32_e32 v2, v27, v29
	v_mul_f32_e32 v3, v26, v29
	s_waitcnt vmcnt(12)
	v_mul_f32_e32 v8, v15, v33
	v_mul_f32_e32 v9, v14, v33
	v_fmac_f32_e32 v2, v26, v28
	v_fma_f32 v3, v27, v28, -v3
	v_fmac_f32_e32 v8, v14, v32
	v_fma_f32 v9, v15, v32, -v9
	v_add_u32_e32 v10, 0x1000, v60
	ds_write2_b64 v10, v[2:3], v[8:9] offset0:16 offset1:148
	;; [unrolled: 12-line block ×3, first 2 shown]
	s_waitcnt vmcnt(7)
	v_mul_f32_e32 v2, v7, v43
	v_mul_f32_e32 v3, v6, v43
	v_fmac_f32_e32 v2, v6, v42
	v_fma_f32 v3, v7, v42, -v3
	s_waitcnt vmcnt(5)
	v_mul_f32_e32 v6, v41, v47
	v_mul_f32_e32 v7, v40, v47
	v_fmac_f32_e32 v6, v40, v46
	v_fma_f32 v7, v41, v46, -v7
	v_add_u32_e32 v8, 0x2000, v60
	ds_write2_b64 v8, v[2:3], v[6:7] offset0:32 offset1:164
	s_waitcnt vmcnt(3)
	v_mul_f32_e32 v2, v45, v51
	v_mul_f32_e32 v3, v44, v51
	s_waitcnt vmcnt(2)
	v_mul_f32_e32 v6, v49, v53
	v_mul_f32_e32 v7, v48, v53
	v_fmac_f32_e32 v2, v44, v50
	v_fma_f32 v3, v45, v50, -v3
	v_fmac_f32_e32 v6, v48, v52
	v_fma_f32 v7, v49, v52, -v7
	v_add_u32_e32 v8, 0x2800, v60
	ds_write2_b64 v8, v[2:3], v[6:7] offset0:40 offset1:172
	s_waitcnt vmcnt(0)
	v_mul_f32_e32 v2, v1, v5
	v_fmac_f32_e32 v2, v0, v4
	v_mul_f32_e32 v0, v0, v5
	v_fma_f32 v3, v1, v4, -v0
	ds_write_b64 v60, v[2:3] offset:12672
.LBB0_3:
	s_or_b64 exec, exec, s[2:3]
	v_mov_b64_e32 v[0:1], 0
	s_waitcnt lgkmcnt(0)
	s_barrier
	s_waitcnt lgkmcnt(0)
                                        ; implicit-def: $vgpr6
                                        ; implicit-def: $vgpr12
                                        ; implicit-def: $vgpr10
                                        ; implicit-def: $vgpr20
                                        ; implicit-def: $vgpr18
                                        ; implicit-def: $vgpr52
	s_and_saveexec_b64 s[2:3], s[6:7]
	s_cbranch_execz .LBB0_5
; %bb.4:
	v_add_u32_e32 v4, 0x800, v60
	ds_read2_b64 v[16:19], v4 offset0:8 offset1:140
	v_add_u32_e32 v4, 0x1000, v60
	ds_read2_b64 v[8:11], v4 offset0:16 offset1:148
	v_add_u32_e32 v4, 0x1800, v60
	v_add_u32_e32 v12, 0x2000, v60
	;; [unrolled: 1-line block ×3, first 2 shown]
	ds_read2_b64 v[0:3], v60 offset1:132
	ds_read2_b64 v[4:7], v4 offset0:24 offset1:156
	ds_read2_b64 v[12:15], v12 offset0:32 offset1:164
	;; [unrolled: 1-line block ×3, first 2 shown]
	ds_read_b64 v[52:53], v60 offset:12672
.LBB0_5:
	s_or_b64 exec, exec, s[2:3]
	s_waitcnt lgkmcnt(0)
	v_pk_add_f32 v[42:43], v[2:3], v[52:53] neg_lo:[0,1] neg_hi:[0,1]
	s_mov_b32 s2, 0xbeedf032
	v_pk_add_f32 v[40:41], v[52:53], v[2:3]
	v_pk_add_f32 v[38:39], v[16:17], v[22:23] neg_lo:[0,1] neg_hi:[0,1]
	s_mov_b32 s10, 0x3f62ad3f
	v_pk_mul_f32 v[24:25], v[42:43], s[2:3] op_sel_hi:[1,0]
	s_mov_b32 s28, 0xbf52af12
	v_pk_add_f32 v[36:37], v[22:23], v[16:17]
	v_pk_fma_f32 v[54:55], v[40:41], s[10:11], v[24:25] op_sel:[0,0,1] op_sel_hi:[1,0,0]
	v_pk_fma_f32 v[56:57], v[40:41], s[10:11], v[24:25] op_sel:[0,0,1] op_sel_hi:[1,0,0] neg_lo:[0,0,1] neg_hi:[0,0,1]
	s_mov_b32 s8, 0x3f116cb1
	v_pk_mul_f32 v[26:27], v[38:39], s[28:29] op_sel_hi:[1,0]
	v_mov_b32_e32 v24, v54
	v_mov_b32_e32 v25, v57
	v_pk_fma_f32 v[58:59], v[36:37], s[8:9], v[26:27] op_sel:[0,0,1] op_sel_hi:[1,0,0]
	v_pk_fma_f32 v[66:67], v[36:37], s[8:9], v[26:27] op_sel:[0,0,1] op_sel_hi:[1,0,0] neg_lo:[0,0,1] neg_hi:[0,0,1]
	v_pk_add_f32 v[34:35], v[18:19], v[20:21] neg_lo:[0,1] neg_hi:[0,1]
	v_pk_add_f32 v[24:25], v[24:25], v[0:1]
	v_mov_b32_e32 v26, v58
	v_mov_b32_e32 v27, v67
	s_mov_b32 s36, 0xbf7e222b
	v_pk_add_f32 v[32:33], v[20:21], v[18:19]
	v_pk_add_f32 v[24:25], v[26:27], v[24:25]
	s_mov_b32 s4, 0x3df6dbef
	v_pk_mul_f32 v[26:27], v[34:35], s[36:37] op_sel_hi:[1,0]
	v_pk_add_f32 v[30:31], v[8:9], v[14:15] neg_lo:[0,1] neg_hi:[0,1]
	v_pk_fma_f32 v[70:71], v[32:33], s[4:5], v[26:27] op_sel:[0,0,1] op_sel_hi:[1,0,0]
	v_pk_fma_f32 v[72:73], v[32:33], s[4:5], v[26:27] op_sel:[0,0,1] op_sel_hi:[1,0,0] neg_lo:[0,0,1] neg_hi:[0,0,1]
	v_mov_b32_e32 v26, v70
	v_mov_b32_e32 v27, v73
	s_mov_b32 s20, 0xbf6f5d39
	v_pk_add_f32 v[28:29], v[14:15], v[8:9]
	v_pk_add_f32 v[24:25], v[26:27], v[24:25]
	s_mov_b32 s18, 0xbeb58ec6
	v_pk_mul_f32 v[26:27], v[30:31], s[20:21] op_sel_hi:[1,0]
	s_mov_b32 s24, 0xbf29c268
	v_pk_fma_f32 v[74:75], v[28:29], s[18:19], v[26:27] op_sel:[0,0,1] op_sel_hi:[1,0,0]
	v_pk_fma_f32 v[76:77], v[28:29], s[18:19], v[26:27] op_sel:[0,0,1] op_sel_hi:[1,0,0] neg_lo:[0,0,1] neg_hi:[0,0,1]
	v_mov_b32_e32 v26, v74
	v_mov_b32_e32 v27, v77
	v_pk_add_f32 v[46:47], v[10:11], v[12:13] neg_lo:[0,1] neg_hi:[0,1]
	v_pk_add_f32 v[24:25], v[26:27], v[24:25]
	s_mov_b32 s22, 0xbf3f9e67
	v_pk_add_f32 v[44:45], v[12:13], v[10:11]
	v_pk_mul_f32 v[26:27], v[46:47], s[24:25] op_sel_hi:[1,0]
	s_mov_b32 s30, 0xbe750f2a
	v_pk_fma_f32 v[78:79], v[44:45], s[22:23], v[26:27] op_sel:[0,0,1] op_sel_hi:[1,0,0]
	v_pk_fma_f32 v[80:81], v[44:45], s[22:23], v[26:27] op_sel:[0,0,1] op_sel_hi:[1,0,0] neg_lo:[0,0,1] neg_hi:[0,0,1]
	v_mov_b32_e32 v26, v78
	v_mov_b32_e32 v27, v81
	v_pk_add_f32 v[50:51], v[4:5], v[6:7] neg_lo:[0,1] neg_hi:[0,1]
	v_pk_add_f32 v[24:25], v[26:27], v[24:25]
	s_mov_b32 s26, 0xbf788fa5
	v_pk_add_f32 v[48:49], v[6:7], v[4:5]
	v_pk_mul_f32 v[26:27], v[50:51], s[30:31] op_sel_hi:[1,0]
	s_mov_b32 s40, 0x3f29c268
	v_pk_fma_f32 v[90:91], v[48:49], s[26:27], v[26:27] op_sel:[0,0,1] op_sel_hi:[1,0,0]
	v_pk_fma_f32 v[92:93], v[48:49], s[26:27], v[26:27] op_sel:[0,0,1] op_sel_hi:[1,0,0] neg_lo:[0,0,1] neg_hi:[0,0,1]
	v_mov_b32_e32 v26, v90
	v_mov_b32_e32 v27, v93
	v_pk_add_f32 v[68:69], v[26:27], v[24:25]
	v_pk_mul_f32 v[24:25], v[42:43], s[28:29] op_sel_hi:[1,0]
	v_pk_mul_f32 v[26:27], v[38:39], s[20:21] op_sel_hi:[1,0]
	v_pk_fma_f32 v[82:83], v[40:41], s[8:9], v[24:25] op_sel:[0,0,1] op_sel_hi:[1,0,0]
	v_pk_fma_f32 v[84:85], v[40:41], s[8:9], v[24:25] op_sel:[0,0,1] op_sel_hi:[1,0,0] neg_lo:[0,0,1] neg_hi:[0,0,1]
	v_mov_b32_e32 v24, v82
	v_mov_b32_e32 v25, v85
	v_pk_fma_f32 v[86:87], v[36:37], s[18:19], v[26:27] op_sel:[0,0,1] op_sel_hi:[1,0,0]
	v_pk_fma_f32 v[88:89], v[36:37], s[18:19], v[26:27] op_sel:[0,0,1] op_sel_hi:[1,0,0] neg_lo:[0,0,1] neg_hi:[0,0,1]
	v_mov_b32_e32 v26, v86
	v_mov_b32_e32 v27, v89
	v_pk_add_f32 v[24:25], v[24:25], v[0:1]
	s_mov_b32 s34, 0x3f7e222b
	v_pk_add_f32 v[24:25], v[26:27], v[24:25]
	v_pk_mul_f32 v[26:27], v[34:35], s[30:31] op_sel_hi:[1,0]
	s_mov_b32 s38, 0x3eedf032
	v_pk_fma_f32 v[94:95], v[32:33], s[26:27], v[26:27] op_sel:[0,0,1] op_sel_hi:[1,0,0]
	v_pk_fma_f32 v[96:97], v[32:33], s[26:27], v[26:27] op_sel:[0,0,1] op_sel_hi:[1,0,0] neg_lo:[0,0,1] neg_hi:[0,0,1]
	v_mov_b32_e32 v26, v94
	v_mov_b32_e32 v27, v97
	v_pk_add_f32 v[24:25], v[26:27], v[24:25]
	v_pk_mul_f32 v[26:27], v[30:31], s[40:41] op_sel_hi:[1,0]
	v_pk_mul_f32 v[116:117], v[38:39], s[30:31] op_sel_hi:[1,0]
	v_pk_fma_f32 v[98:99], v[28:29], s[22:23], v[26:27] op_sel:[0,0,1] op_sel_hi:[1,0,0]
	v_pk_fma_f32 v[100:101], v[28:29], s[22:23], v[26:27] op_sel:[0,0,1] op_sel_hi:[1,0,0] neg_lo:[0,0,1] neg_hi:[0,0,1]
	v_mov_b32_e32 v26, v98
	v_mov_b32_e32 v27, v101
	v_pk_add_f32 v[24:25], v[26:27], v[24:25]
	v_pk_mul_f32 v[26:27], v[46:47], s[34:35] op_sel_hi:[1,0]
	v_pk_fma_f32 v[114:115], v[36:37], s[26:27], v[116:117] op_sel:[0,0,1] op_sel_hi:[1,0,0]
	v_pk_fma_f32 v[102:103], v[44:45], s[4:5], v[26:27] op_sel:[0,0,1] op_sel_hi:[1,0,0]
	v_pk_fma_f32 v[104:105], v[44:45], s[4:5], v[26:27] op_sel:[0,0,1] op_sel_hi:[1,0,0] neg_lo:[0,0,1] neg_hi:[0,0,1]
	v_mov_b32_e32 v26, v102
	v_mov_b32_e32 v27, v105
	v_pk_add_f32 v[24:25], v[26:27], v[24:25]
	v_pk_mul_f32 v[26:27], v[50:51], s[38:39] op_sel_hi:[1,0]
	v_pk_fma_f32 v[116:117], v[36:37], s[26:27], v[116:117] op_sel:[0,0,1] op_sel_hi:[1,0,0] neg_lo:[0,0,1] neg_hi:[0,0,1]
	v_pk_fma_f32 v[106:107], v[48:49], s[10:11], v[26:27] op_sel:[0,0,1] op_sel_hi:[1,0,0]
	v_pk_fma_f32 v[108:109], v[48:49], s[10:11], v[26:27] op_sel:[0,0,1] op_sel_hi:[1,0,0] neg_lo:[0,0,1] neg_hi:[0,0,1]
	v_mov_b32_e32 v26, v106
	v_mov_b32_e32 v27, v109
	v_pk_add_f32 v[24:25], v[26:27], v[24:25]
	v_pk_mul_f32 v[26:27], v[42:43], s[36:37] op_sel_hi:[1,0]
	s_mov_b32 s2, 0x3f6f5d39
	v_pk_fma_f32 v[110:111], v[40:41], s[4:5], v[26:27] op_sel:[0,0,1] op_sel_hi:[1,0,0]
	v_pk_fma_f32 v[112:113], v[40:41], s[4:5], v[26:27] op_sel:[0,0,1] op_sel_hi:[1,0,0] neg_lo:[0,0,1] neg_hi:[0,0,1]
	v_mov_b32_e32 v26, v110
	v_mov_b32_e32 v27, v113
	;; [unrolled: 1-line block ×4, first 2 shown]
	v_pk_add_f32 v[26:27], v[26:27], v[0:1]
	v_pk_mul_f32 v[120:121], v[34:35], s[2:3] op_sel_hi:[1,0]
	v_pk_add_f32 v[26:27], v[118:119], v[26:27]
	v_pk_fma_f32 v[118:119], v[32:33], s[18:19], v[120:121] op_sel:[0,0,1] op_sel_hi:[1,0,0]
	v_pk_fma_f32 v[120:121], v[32:33], s[18:19], v[120:121] op_sel:[0,0,1] op_sel_hi:[1,0,0] neg_lo:[0,0,1] neg_hi:[0,0,1]
	v_mov_b32_e32 v122, v118
	v_mov_b32_e32 v123, v121
	v_pk_mul_f32 v[124:125], v[30:31], s[38:39] op_sel_hi:[1,0]
	v_pk_add_f32 v[26:27], v[122:123], v[26:27]
	v_pk_fma_f32 v[122:123], v[28:29], s[10:11], v[124:125] op_sel:[0,0,1] op_sel_hi:[1,0,0]
	v_pk_fma_f32 v[124:125], v[28:29], s[10:11], v[124:125] op_sel:[0,0,1] op_sel_hi:[1,0,0] neg_lo:[0,0,1] neg_hi:[0,0,1]
	v_mov_b32_e32 v126, v122
	v_mov_b32_e32 v127, v125
	v_pk_mul_f32 v[128:129], v[46:47], s[28:29] op_sel_hi:[1,0]
	v_pk_add_f32 v[26:27], v[126:127], v[26:27]
	v_pk_fma_f32 v[126:127], v[44:45], s[8:9], v[128:129] op_sel:[0,0,1] op_sel_hi:[1,0,0]
	v_pk_fma_f32 v[128:129], v[44:45], s[8:9], v[128:129] op_sel:[0,0,1] op_sel_hi:[1,0,0] neg_lo:[0,0,1] neg_hi:[0,0,1]
	s_load_dwordx2 s[2:3], s[0:1], 0x20
	s_load_dwordx2 s[14:15], s[0:1], 0x8
	v_mov_b32_e32 v130, v126
	v_mov_b32_e32 v131, v129
	v_pk_mul_f32 v[132:133], v[50:51], s[24:25] op_sel_hi:[1,0]
	v_pk_add_f32 v[26:27], v[130:131], v[26:27]
	v_pk_fma_f32 v[130:131], v[48:49], s[22:23], v[132:133] op_sel:[0,0,1] op_sel_hi:[1,0,0]
	v_pk_fma_f32 v[132:133], v[48:49], s[22:23], v[132:133] op_sel:[0,0,1] op_sel_hi:[1,0,0] neg_lo:[0,0,1] neg_hi:[0,0,1]
	v_mov_b32_e32 v134, v130
	v_mov_b32_e32 v135, v133
	v_pk_add_f32 v[26:27], v[134:135], v[26:27]
	v_mul_lo_u16_e32 v166, 13, v62
	s_waitcnt lgkmcnt(0)
	s_barrier
	s_and_saveexec_b64 s[0:1], s[6:7]
	s_cbranch_execz .LBB0_7
; %bb.6:
	v_pk_add_f32 v[2:3], v[2:3], v[0:1]
	v_mov_b32_e32 v57, v55
	v_pk_add_f32 v[2:3], v[16:17], v[2:3]
	v_mov_b32_e32 v67, v59
	;; [unrolled: 2-line block ×5, first 2 shown]
	v_pk_add_f32 v[2:3], v[4:5], v[2:3]
	v_pk_add_f32 v[4:5], v[56:57], v[0:1]
	;; [unrolled: 1-line block ×11, first 2 shown]
	v_mov_b32_e32 v93, v91
	v_lshlrev_b32_e32 v61, 3, v166
	v_pk_add_f32 v[2:3], v[52:53], v[2:3]
	v_pk_add_f32 v[4:5], v[92:93], v[4:5]
	v_mov_b32_e32 v85, v83
	v_mov_b32_e32 v113, v111
	ds_write2_b64 v61, v[2:3], v[4:5] offset1:1
	v_pk_add_f32 v[2:3], v[84:85], v[0:1]
	v_mov_b32_e32 v89, v87
	v_pk_add_f32 v[4:5], v[112:113], v[0:1]
	v_mov_b32_e32 v117, v115
	;; [unrolled: 2-line block ×10, first 2 shown]
	v_pk_add_f32 v[2:3], v[108:109], v[2:3]
	v_pk_add_f32 v[4:5], v[132:133], v[4:5]
	ds_write2_b64 v61, v[2:3], v[4:5] offset0:2 offset1:3
	v_pk_mul_f32 v[2:3], v[42:43], s[20:21] op_sel_hi:[1,0]
	v_pk_mul_f32 v[8:9], v[38:39], s[40:41] op_sel_hi:[1,0]
	v_pk_fma_f32 v[4:5], v[40:41], s[18:19], v[2:3] op_sel:[0,0,1] op_sel_hi:[1,0,0] neg_lo:[0,0,1] neg_hi:[0,0,1]
	v_pk_fma_f32 v[2:3], v[40:41], s[18:19], v[2:3] op_sel:[0,0,1] op_sel_hi:[1,0,0]
	v_mov_b32_e32 v6, v4
	v_mov_b32_e32 v7, v3
	v_pk_fma_f32 v[10:11], v[36:37], s[22:23], v[8:9] op_sel:[0,0,1] op_sel_hi:[1,0,0] neg_lo:[0,0,1] neg_hi:[0,0,1]
	v_pk_fma_f32 v[8:9], v[36:37], s[22:23], v[8:9] op_sel:[0,0,1] op_sel_hi:[1,0,0]
	v_pk_add_f32 v[6:7], v[6:7], v[0:1]
	v_mov_b32_e32 v12, v10
	v_mov_b32_e32 v13, v9
	v_pk_add_f32 v[6:7], v[12:13], v[6:7]
	v_pk_mul_f32 v[12:13], v[34:35], s[38:39] op_sel_hi:[1,0]
	s_mov_b32 s40, 0x3f52af12
	v_pk_fma_f32 v[14:15], v[32:33], s[10:11], v[12:13] op_sel:[0,0,1] op_sel_hi:[1,0,0] neg_lo:[0,0,1] neg_hi:[0,0,1]
	v_pk_fma_f32 v[12:13], v[32:33], s[10:11], v[12:13] op_sel:[0,0,1] op_sel_hi:[1,0,0]
	v_mov_b32_e32 v16, v14
	v_mov_b32_e32 v17, v13
	v_pk_add_f32 v[6:7], v[16:17], v[6:7]
	v_pk_mul_f32 v[16:17], v[30:31], s[36:37] op_sel_hi:[1,0]
	s_mov_b32 s36, 0x3e750f2a
	v_pk_fma_f32 v[18:19], v[28:29], s[4:5], v[16:17] op_sel:[0,0,1] op_sel_hi:[1,0,0] neg_lo:[0,0,1] neg_hi:[0,0,1]
	v_pk_fma_f32 v[16:17], v[28:29], s[4:5], v[16:17] op_sel:[0,0,1] op_sel_hi:[1,0,0]
	v_mov_b32_e32 v20, v18
	v_mov_b32_e32 v21, v17
	v_pk_add_f32 v[6:7], v[20:21], v[6:7]
	v_pk_mul_f32 v[20:21], v[46:47], s[36:37] op_sel_hi:[1,0]
	v_pk_mul_f32 v[58:59], v[38:39], s[34:35] op_sel_hi:[1,0]
	v_pk_fma_f32 v[22:23], v[44:45], s[26:27], v[20:21] op_sel:[0,0,1] op_sel_hi:[1,0,0] neg_lo:[0,0,1] neg_hi:[0,0,1]
	v_pk_fma_f32 v[20:21], v[44:45], s[26:27], v[20:21] op_sel:[0,0,1] op_sel_hi:[1,0,0]
	v_mov_b32_e32 v52, v22
	v_mov_b32_e32 v53, v21
	v_pk_add_f32 v[6:7], v[52:53], v[6:7]
	v_pk_mul_f32 v[52:53], v[50:51], s[40:41] op_sel_hi:[1,0]
	v_pk_fma_f32 v[80:81], v[36:37], s[4:5], v[58:59] op_sel:[0,0,1] op_sel_hi:[1,0,0] neg_lo:[0,0,1] neg_hi:[0,0,1]
	v_pk_fma_f32 v[54:55], v[48:49], s[8:9], v[52:53] op_sel:[0,0,1] op_sel_hi:[1,0,0] neg_lo:[0,0,1] neg_hi:[0,0,1]
	v_pk_fma_f32 v[52:53], v[48:49], s[8:9], v[52:53] op_sel:[0,0,1] op_sel_hi:[1,0,0]
	v_mov_b32_e32 v56, v54
	v_mov_b32_e32 v57, v53
	v_pk_add_f32 v[6:7], v[56:57], v[6:7]
	v_pk_mul_f32 v[56:57], v[42:43], s[24:25] op_sel_hi:[1,0]
	v_pk_fma_f32 v[58:59], v[36:37], s[4:5], v[58:59] op_sel:[0,0,1] op_sel_hi:[1,0,0]
	v_pk_fma_f32 v[76:77], v[40:41], s[22:23], v[56:57] op_sel:[0,0,1] op_sel_hi:[1,0,0] neg_lo:[0,0,1] neg_hi:[0,0,1]
	v_pk_fma_f32 v[56:57], v[40:41], s[22:23], v[56:57] op_sel:[0,0,1] op_sel_hi:[1,0,0]
	v_mov_b32_e32 v78, v76
	v_mov_b32_e32 v79, v57
	v_pk_mul_f32 v[66:67], v[34:35], s[28:29] op_sel_hi:[1,0]
	v_pk_add_f32 v[78:79], v[78:79], v[0:1]
	v_mov_b32_e32 v82, v80
	v_mov_b32_e32 v83, v59
	v_pk_add_f32 v[78:79], v[82:83], v[78:79]
	v_pk_fma_f32 v[82:83], v[32:33], s[8:9], v[66:67] op_sel:[0,0,1] op_sel_hi:[1,0,0] neg_lo:[0,0,1] neg_hi:[0,0,1]
	v_pk_fma_f32 v[66:67], v[32:33], s[8:9], v[66:67] op_sel:[0,0,1] op_sel_hi:[1,0,0]
	v_pk_mul_f32 v[70:71], v[30:31], s[36:37] op_sel_hi:[1,0]
	v_mov_b32_e32 v84, v82
	v_mov_b32_e32 v85, v67
	v_pk_add_f32 v[78:79], v[84:85], v[78:79]
	v_pk_fma_f32 v[84:85], v[28:29], s[26:27], v[70:71] op_sel:[0,0,1] op_sel_hi:[1,0,0] neg_lo:[0,0,1] neg_hi:[0,0,1]
	v_pk_fma_f32 v[70:71], v[28:29], s[26:27], v[70:71] op_sel:[0,0,1] op_sel_hi:[1,0,0]
	v_pk_mul_f32 v[72:73], v[46:47], s[38:39] op_sel_hi:[1,0]
	;; [unrolled: 6-line block ×3, first 2 shown]
	v_mov_b32_e32 v88, v86
	v_mov_b32_e32 v89, v73
	v_pk_add_f32 v[78:79], v[88:89], v[78:79]
	v_pk_fma_f32 v[88:89], v[48:49], s[18:19], v[74:75] op_sel:[0,0,1] op_sel_hi:[1,0,0] neg_lo:[0,0,1] neg_hi:[0,0,1]
	v_pk_fma_f32 v[74:75], v[48:49], s[18:19], v[74:75] op_sel:[0,0,1] op_sel_hi:[1,0,0]
	v_mov_b32_e32 v90, v88
	v_mov_b32_e32 v91, v75
	v_pk_add_f32 v[78:79], v[90:91], v[78:79]
	ds_write2_b64 v61, v[6:7], v[78:79] offset0:4 offset1:5
	v_pk_mul_f32 v[6:7], v[42:43], s[30:31] op_sel_hi:[1,0]
	v_pk_mul_f32 v[38:39], v[38:39], s[38:39] op_sel_hi:[1,0]
	v_pk_fma_f32 v[42:43], v[40:41], s[26:27], v[6:7] op_sel:[0,0,1] op_sel_hi:[1,0,0] neg_lo:[0,0,1] neg_hi:[0,0,1]
	v_pk_fma_f32 v[6:7], v[40:41], s[26:27], v[6:7] op_sel:[0,0,1] op_sel_hi:[1,0,0]
	v_mov_b32_e32 v40, v42
	v_mov_b32_e32 v41, v7
	v_pk_fma_f32 v[78:79], v[36:37], s[10:11], v[38:39] op_sel:[0,0,1] op_sel_hi:[1,0,0] neg_lo:[0,0,1] neg_hi:[0,0,1]
	v_pk_fma_f32 v[36:37], v[36:37], s[10:11], v[38:39] op_sel:[0,0,1] op_sel_hi:[1,0,0]
	v_pk_add_f32 v[40:41], v[40:41], v[0:1]
	v_mov_b32_e32 v38, v78
	v_mov_b32_e32 v39, v37
	v_pk_mul_f32 v[34:35], v[34:35], s[24:25] op_sel_hi:[1,0]
	v_pk_add_f32 v[38:39], v[38:39], v[40:41]
	v_pk_fma_f32 v[40:41], v[32:33], s[22:23], v[34:35] op_sel:[0,0,1] op_sel_hi:[1,0,0] neg_lo:[0,0,1] neg_hi:[0,0,1]
	v_pk_fma_f32 v[32:33], v[32:33], s[22:23], v[34:35] op_sel:[0,0,1] op_sel_hi:[1,0,0]
	v_mov_b32_e32 v34, v40
	v_mov_b32_e32 v35, v33
	v_pk_mul_f32 v[30:31], v[30:31], s[40:41] op_sel_hi:[1,0]
	v_pk_add_f32 v[34:35], v[34:35], v[38:39]
	v_pk_fma_f32 v[38:39], v[28:29], s[8:9], v[30:31] op_sel:[0,0,1] op_sel_hi:[1,0,0] neg_lo:[0,0,1] neg_hi:[0,0,1]
	v_pk_fma_f32 v[28:29], v[28:29], s[8:9], v[30:31] op_sel:[0,0,1] op_sel_hi:[1,0,0]
	v_mov_b32_e32 v30, v38
	v_mov_b32_e32 v31, v29
	v_pk_add_f32 v[30:31], v[30:31], v[34:35]
	v_pk_mul_f32 v[34:35], v[46:47], s[20:21] op_sel_hi:[1,0]
	v_mov_b32_e32 v7, v43
	v_pk_fma_f32 v[46:47], v[44:45], s[18:19], v[34:35] op_sel:[0,0,1] op_sel_hi:[1,0,0] neg_lo:[0,0,1] neg_hi:[0,0,1]
	v_pk_fma_f32 v[34:35], v[44:45], s[18:19], v[34:35] op_sel:[0,0,1] op_sel_hi:[1,0,0]
	v_pk_add_f32 v[6:7], v[6:7], v[0:1]
	v_mov_b32_e32 v37, v79
	v_mov_b32_e32 v44, v46
	;; [unrolled: 1-line block ×3, first 2 shown]
	v_pk_add_f32 v[6:7], v[36:37], v[6:7]
	v_mov_b32_e32 v33, v41
	v_pk_add_f32 v[30:31], v[44:45], v[30:31]
	v_pk_mul_f32 v[44:45], v[50:51], s[34:35] op_sel_hi:[1,0]
	v_pk_add_f32 v[6:7], v[32:33], v[6:7]
	v_mov_b32_e32 v29, v39
	v_pk_fma_f32 v[50:51], v[48:49], s[4:5], v[44:45] op_sel:[0,0,1] op_sel_hi:[1,0,0] neg_lo:[0,0,1] neg_hi:[0,0,1]
	v_pk_fma_f32 v[44:45], v[48:49], s[4:5], v[44:45] op_sel:[0,0,1] op_sel_hi:[1,0,0]
	v_pk_add_f32 v[6:7], v[28:29], v[6:7]
	v_mov_b32_e32 v35, v47
	v_mov_b32_e32 v48, v50
	;; [unrolled: 1-line block ×3, first 2 shown]
	v_pk_add_f32 v[6:7], v[34:35], v[6:7]
	v_mov_b32_e32 v45, v51
	v_pk_add_f32 v[30:31], v[48:49], v[30:31]
	v_pk_add_f32 v[6:7], v[44:45], v[6:7]
	v_mov_b32_e32 v57, v77
	v_mov_b32_e32 v3, v5
	ds_write2_b64 v61, v[30:31], v[6:7] offset0:6 offset1:7
	v_pk_add_f32 v[6:7], v[56:57], v[0:1]
	v_mov_b32_e32 v59, v81
	v_pk_add_f32 v[0:1], v[2:3], v[0:1]
	v_mov_b32_e32 v9, v11
	;; [unrolled: 2-line block ×10, first 2 shown]
	v_pk_add_f32 v[6:7], v[74:75], v[6:7]
	v_pk_add_f32 v[0:1], v[52:53], v[0:1]
	ds_write2_b64 v61, v[6:7], v[0:1] offset0:8 offset1:9
	ds_write2_b64 v61, v[26:27], v[24:25] offset0:10 offset1:11
	ds_write_b64 v61, v[68:69] offset:96
.LBB0_7:
	s_or_b64 exec, exec, s[0:1]
	v_add_u32_e32 v0, 0x1300, v60
	s_waitcnt lgkmcnt(0)
	s_barrier
	ds_read2_b64 v[12:15], v0 offset0:16 offset1:250
	v_add_u32_e32 v0, 0x1e00, v60
	ds_read2_b64 v[8:11], v0 offset0:54 offset1:210
	v_add_u32_e32 v0, 0x800, v60
	v_add_u32_e32 v16, 0x2800, v60
	ds_read2_b64 v[4:7], v60 offset1:156
	ds_read2_b64 v[0:3], v0 offset0:56 offset1:212
	ds_read2_b64 v[16:19], v16 offset0:46 offset1:202
	s_movk_i32 s0, 0x4e
	v_cmp_gt_u16_e64 s[4:5], s0, v62
	s_and_saveexec_b64 s[0:1], s[4:5]
	s_cbranch_execz .LBB0_9
; %bb.8:
	ds_read_b64 v[26:27], v60 offset:6240
	ds_read_b64 v[24:25], v60 offset:13104
.LBB0_9:
	s_or_b64 exec, exec, s[0:1]
	s_mov_b64 s[0:1], 0x138
	v_lshl_add_u64 v[20:21], v[62:63], 0, s[0:1]
	s_mov_b64 s[0:1], 0x1d4
	v_lshl_add_u64 v[22:23], v[62:63], 0, s[0:1]
	;; [unrolled: 2-line block ×3, first 2 shown]
	s_movk_i32 s0, 0x4f
	v_mul_lo_u16_sdwa v21, v62, s0 dst_sel:DWORD dst_unused:UNUSED_PAD src0_sel:BYTE_0 src1_sel:DWORD
	s_movk_i32 s0, 0x4ec5
	v_mul_u32_u24_sdwa v35, v22, s0 dst_sel:DWORD dst_unused:UNUSED_PAD src0_sel:WORD_0 src1_sel:DWORD
	v_lshrrev_b32_e32 v41, 18, v35
	v_mul_lo_u16_e32 v35, 13, v41
	v_sub_u16_e32 v44, v22, v35
	v_lshlrev_b32_e32 v22, 3, v44
	global_load_dwordx2 v[72:73], v22, s[14:15]
	v_mul_u32_u24_sdwa v22, v28, s0 dst_sel:DWORD dst_unused:UNUSED_PAD src0_sel:WORD_0 src1_sel:DWORD
	v_lshrrev_b32_e32 v45, 18, v22
	v_mul_lo_u16_e32 v22, 13, v45
	v_add_u16_e32 v40, 0x9c, v62
	v_sub_u16_e32 v46, v28, v22
	v_add_u16_e32 v28, 0x30c, v62
	v_lshrrev_b16_e32 v21, 10, v21
	v_mul_u32_u24_e32 v30, 0x4ec5, v40
	v_mul_u32_u24_sdwa v33, v20, s0 dst_sel:DWORD dst_unused:UNUSED_PAD src0_sel:WORD_0 src1_sel:DWORD
	v_mul_u32_u24_e32 v35, 0x4ec5, v28
	v_mul_lo_u16_e32 v23, 13, v21
	v_lshrrev_b32_e32 v30, 18, v30
	v_lshrrev_b32_e32 v33, 18, v33
	;; [unrolled: 1-line block ×3, first 2 shown]
	v_sub_u16_e32 v23, v62, v23
	v_mul_lo_u16_e32 v31, 13, v30
	v_mul_lo_u16_e32 v34, 13, v33
	;; [unrolled: 1-line block ×3, first 2 shown]
	v_and_b32_e32 v23, 0xff, v23
	v_sub_u16_e32 v31, v40, v31
	v_sub_u16_e32 v20, v20, v34
	v_lshlrev_b32_e32 v22, 3, v46
	v_sub_u16_e32 v161, v28, v35
	v_lshlrev_b32_e32 v29, 3, v23
	v_lshlrev_b32_e32 v32, 3, v31
	;; [unrolled: 1-line block ×4, first 2 shown]
	global_load_dwordx2 v[74:75], v22, s[14:15]
	global_load_dwordx2 v[70:71], v28, s[14:15]
	;; [unrolled: 1-line block ×5, first 2 shown]
	v_mul_u32_u24_e32 v21, 26, v21
	v_mad_legacy_u16 v22, v30, 26, v31
	v_mad_legacy_u16 v20, v33, 26, v20
	v_add_lshl_u32 v164, v21, v23, 3
	v_lshlrev_b32_e32 v162, 3, v22
	v_lshlrev_b32_e32 v165, 3, v20
	s_load_dwordx4 s[8:11], s[2:3], 0x0
	s_waitcnt lgkmcnt(0)
	s_barrier
	s_waitcnt vmcnt(5)
	v_pk_mul_f32 v[20:21], v[16:17], v[72:73] op_sel:[0,1]
	s_nop 0
	v_pk_fma_f32 v[34:35], v[16:17], v[72:73], v[20:21] op_sel:[0,0,1] op_sel_hi:[1,1,0] neg_lo:[0,0,1] neg_hi:[0,0,1]
	v_pk_fma_f32 v[16:17], v[16:17], v[72:73], v[20:21] op_sel:[0,0,1] op_sel_hi:[1,0,0]
	s_waitcnt vmcnt(4)
	v_pk_mul_f32 v[22:23], v[18:19], v[74:75] op_sel:[0,1]
	s_waitcnt vmcnt(3)
	v_pk_mul_f32 v[28:29], v[24:25], v[70:71] op_sel:[1,0]
	;; [unrolled: 2-line block ×4, first 2 shown]
	v_pk_fma_f32 v[36:37], v[18:19], v[74:75], v[22:23] op_sel:[0,0,1] op_sel_hi:[1,1,0] neg_lo:[0,0,1] neg_hi:[0,0,1]
	v_pk_fma_f32 v[18:19], v[18:19], v[74:75], v[22:23] op_sel:[0,0,1] op_sel_hi:[1,0,0]
	v_pk_fma_f32 v[22:23], v[24:25], v[70:71], v[28:29] op_sel:[0,0,1] op_sel_hi:[1,1,0] neg_lo:[0,0,1] neg_hi:[0,0,1]
	v_pk_fma_f32 v[20:21], v[24:25], v[70:71], v[28:29] op_sel:[0,0,1] op_sel_hi:[0,1,0]
	;; [unrolled: 2-line block ×4, first 2 shown]
	v_mov_b32_e32 v35, v17
	v_mov_b32_e32 v25, v15
	;; [unrolled: 1-line block ×4, first 2 shown]
	v_pk_add_f32 v[20:21], v[2:3], v[34:35] neg_lo:[0,1] neg_hi:[0,1]
	v_pk_add_f32 v[8:9], v[4:5], v[24:25] neg_lo:[0,1] neg_hi:[0,1]
	;; [unrolled: 1-line block ×3, first 2 shown]
	s_waitcnt vmcnt(0)
	v_pk_mul_f32 v[42:43], v[10:11], v[76:77] op_sel:[0,1]
	v_pk_fma_f32 v[16:17], v[2:3], 2.0, v[20:21] op_sel_hi:[1,0,1] neg_lo:[0,0,1] neg_hi:[0,0,1]
	v_pk_fma_f32 v[2:3], v[4:5], 2.0, v[8:9] op_sel_hi:[1,0,1] neg_lo:[0,0,1] neg_hi:[0,0,1]
	;; [unrolled: 1-line block ×3, first 2 shown]
	ds_write2_b64 v164, v[2:3], v[8:9] offset1:13
	ds_write2_b64 v162, v[4:5], v[14:15] offset1:13
	v_pk_fma_f32 v[2:3], v[10:11], v[76:77], v[42:43] op_sel:[0,0,1] op_sel_hi:[1,1,0] neg_lo:[0,0,1] neg_hi:[0,0,1]
	v_pk_fma_f32 v[4:5], v[10:11], v[76:77], v[42:43] op_sel:[0,0,1] op_sel_hi:[1,0,0]
	v_mov_b32_e32 v37, v19
	v_mov_b32_e32 v3, v5
	v_pk_add_f32 v[2:3], v[0:1], v[2:3] neg_lo:[0,1] neg_hi:[0,1]
	v_pk_add_f32 v[34:35], v[12:13], v[36:37] neg_lo:[0,1] neg_hi:[0,1]
	v_pk_fma_f32 v[0:1], v[0:1], 2.0, v[2:3] op_sel_hi:[1,0,1] neg_lo:[0,0,1] neg_hi:[0,0,1]
	ds_write2_b64 v165, v[0:1], v[2:3] offset1:13
	v_mad_legacy_u16 v0, v41, 26, v44
	v_pk_add_f32 v[36:37], v[26:27], v[22:23] neg_lo:[0,1] neg_hi:[0,1]
	v_lshlrev_b32_e32 v167, 3, v0
	v_mad_legacy_u16 v0, v45, 26, v46
	v_pk_fma_f32 v[22:23], v[12:13], 2.0, v[34:35] op_sel_hi:[1,0,1] neg_lo:[0,0,1] neg_hi:[0,0,1]
	v_pk_fma_f32 v[38:39], v[26:27], 2.0, v[36:37] op_sel_hi:[1,0,1] neg_lo:[0,0,1] neg_hi:[0,0,1]
	v_lshlrev_b32_e32 v168, 3, v0
	ds_write2_b64 v167, v[16:17], v[20:21] offset1:13
	ds_write2_b64 v168, v[22:23], v[34:35] offset1:13
	s_and_saveexec_b64 s[0:1], s[4:5]
	s_cbranch_execz .LBB0_11
; %bb.10:
	v_mad_legacy_u16 v0, v160, 26, v161
	v_lshlrev_b32_e32 v0, 3, v0
	ds_write2_b64 v0, v[38:39], v[36:37] offset1:13
.LBB0_11:
	s_or_b64 exec, exec, s[0:1]
	s_waitcnt lgkmcnt(0)
	s_barrier
	ds_read_b64 v[18:19], v60
	ds_read_b64 v[32:33], v60 offset:2288
	ds_read_b64 v[26:27], v60 offset:4576
	;; [unrolled: 1-line block ×5, first 2 shown]
	s_movk_i32 s0, 0x82
	v_cmp_gt_u16_e64 s[2:3], s0, v62
	s_and_saveexec_b64 s[0:1], s[2:3]
	s_cbranch_execz .LBB0_13
; %bb.12:
	ds_read_b64 v[16:17], v60 offset:1248
	ds_read_b64 v[20:21], v60 offset:3536
	;; [unrolled: 1-line block ×6, first 2 shown]
.LBB0_13:
	s_or_b64 exec, exec, s[0:1]
	v_mul_u32_u24_e32 v0, 0x4ec5, v40
	s_movk_i32 s0, 0x4f
	v_lshrrev_b32_e32 v63, 19, v0
	v_mul_lo_u16_sdwa v8, v62, s0 dst_sel:DWORD dst_unused:UNUSED_PAD src0_sel:BYTE_0 src1_sel:DWORD
	v_mul_lo_u16_e32 v0, 26, v63
	v_lshrrev_b16_e32 v42, 11, v8
	v_sub_u16_e32 v65, v40, v0
	v_mul_lo_u16_e32 v8, 26, v42
	v_mul_lo_u16_e32 v0, 40, v65
	v_mov_b32_e32 v1, 0
	v_sub_u16_e32 v8, v62, v8
	v_lshl_add_u64 v[0:1], s[14:15], 0, v[0:1]
	v_and_b32_e32 v43, 0xff, v8
	global_load_dwordx4 v[4:7], v[0:1], off offset:120
	global_load_dwordx2 v[66:67], v[0:1], off offset:136
	v_mad_u64_u32 v[40:41], s[0:1], v43, 40, s[14:15]
	global_load_dwordx4 v[0:3], v[0:1], off offset:104
	s_nop 0
	global_load_dwordx4 v[12:15], v[40:41], off offset:104
	global_load_dwordx4 v[8:11], v[40:41], off offset:120
	global_load_dwordx2 v[82:83], v[40:41], off offset:136
	v_mul_u32_u24_e32 v40, 0x9c, v42
	v_add_lshl_u32 v163, v40, v43, 3
	s_mov_b32 s0, 0x3f5db3d7
	s_mov_b32 s1, 0xbf5db3d7
	s_movk_i32 s18, 0x9c
	s_waitcnt lgkmcnt(0)
	s_barrier
	s_waitcnt vmcnt(5)
	v_pk_mul_f32 v[42:43], v[38:39], v[6:7] op_sel:[1,0]
	v_pk_mul_f32 v[44:45], v[34:35], v[4:5] op_sel:[1,0]
	s_waitcnt vmcnt(4)
	v_pk_mul_f32 v[46:47], v[36:37], v[66:67] op_sel:[1,0]
	v_pk_fma_f32 v[40:41], v[38:39], v[6:7], v[42:43] op_sel:[0,0,1] op_sel_hi:[1,1,0] neg_lo:[0,0,1] neg_hi:[0,0,1]
	s_waitcnt vmcnt(3)
	v_pk_mul_f32 v[48:49], v[22:23], v[2:3] op_sel:[1,0]
	v_pk_fma_f32 v[42:43], v[38:39], v[6:7], v[42:43] op_sel:[0,0,1] op_sel_hi:[0,1,0]
	v_pk_mul_f32 v[50:51], v[20:21], v[0:1] op_sel_hi:[0,1]
	v_pk_fma_f32 v[38:39], v[34:35], v[4:5], v[44:45] op_sel:[0,0,1] op_sel_hi:[1,1,0] neg_lo:[0,0,1] neg_hi:[0,0,1]
	v_pk_fma_f32 v[44:45], v[34:35], v[4:5], v[44:45] op_sel:[0,0,1] op_sel_hi:[0,1,0]
	v_pk_fma_f32 v[34:35], v[36:37], v[66:67], v[46:47] op_sel:[0,0,1] op_sel_hi:[1,1,0] neg_lo:[0,0,1] neg_hi:[0,0,1]
	v_pk_fma_f32 v[46:47], v[36:37], v[66:67], v[46:47] op_sel:[0,0,1] op_sel_hi:[0,1,0]
	s_waitcnt vmcnt(2)
	v_pk_mul_f32 v[52:53], v[32:33], v[12:13] op_sel:[0,1]
	s_waitcnt vmcnt(1)
	v_pk_mul_f32 v[54:55], v[30:31], v[8:9] op_sel:[0,1]
	;; [unrolled: 2-line block ×3, first 2 shown]
	v_mov_b32_e32 v42, v15
	v_mov_b32_e32 v44, v11
	v_pk_fma_f32 v[36:37], v[22:23], v[2:3], v[48:49] op_sel:[0,0,1] op_sel_hi:[1,1,0] neg_lo:[0,0,1] neg_hi:[0,0,1]
	v_pk_fma_f32 v[48:49], v[22:23], v[2:3], v[48:49] op_sel:[0,0,1] op_sel_hi:[0,1,0]
	v_pk_fma_f32 v[22:23], v[20:21], v[0:1], v[50:51] op_sel:[1,0,1] op_sel_hi:[1,1,0]
	v_pk_fma_f32 v[20:21], v[20:21], v[0:1], v[50:51] op_sel:[1,0,1] op_sel_hi:[1,1,0] neg_lo:[1,0,0] neg_hi:[1,0,0]
	v_mov_b32_e32 v35, v47
	v_pk_fma_f32 v[46:47], v[32:33], v[12:13], v[52:53] op_sel:[0,0,1] op_sel_hi:[1,1,0] neg_lo:[0,0,1] neg_hi:[0,0,1]
	v_pk_fma_f32 v[32:33], v[32:33], v[12:13], v[52:53] op_sel:[0,0,1] op_sel_hi:[1,0,0]
	v_pk_fma_f32 v[50:51], v[30:31], v[8:9], v[54:55] op_sel:[0,0,1] op_sel_hi:[1,1,0] neg_lo:[0,0,1] neg_hi:[0,0,1]
	v_pk_fma_f32 v[30:31], v[30:31], v[8:9], v[54:55] op_sel:[0,0,1] op_sel_hi:[1,0,0]
	v_pk_fma_f32 v[52:53], v[28:29], v[82:83], v[56:57] op_sel:[0,0,1] op_sel_hi:[1,1,0] neg_lo:[0,0,1] neg_hi:[0,0,1]
	v_pk_fma_f32 v[28:29], v[28:29], v[82:83], v[56:57] op_sel:[0,0,1] op_sel_hi:[1,0,0]
	v_mov_b32_e32 v41, v43
	v_mov_b32_e32 v39, v45
	v_pk_mul_f32 v[42:43], v[26:27], v[42:43] op_sel_hi:[1,0]
	v_pk_mul_f32 v[44:45], v[24:25], v[44:45] op_sel_hi:[1,0]
	v_mov_b32_e32 v37, v49
	v_mov_b32_e32 v51, v31
	;; [unrolled: 1-line block ×4, first 2 shown]
	v_pk_add_f32 v[20:21], v[38:39], v[34:35]
	v_mov_b32_e32 v47, v33
	v_pk_fma_f32 v[32:33], v[26:27], v[14:15], v[42:43] op_sel:[0,0,1] op_sel_hi:[1,1,0] neg_lo:[0,0,1] neg_hi:[0,0,1]
	v_pk_fma_f32 v[26:27], v[26:27], v[14:15], v[42:43] op_sel:[0,0,1] op_sel_hi:[1,0,0]
	v_pk_fma_f32 v[54:55], v[24:25], v[10:11], v[44:45] op_sel:[0,0,1] op_sel_hi:[1,1,0] neg_lo:[0,0,1] neg_hi:[0,0,1]
	v_pk_fma_f32 v[24:25], v[24:25], v[10:11], v[44:45] op_sel:[0,0,1] op_sel_hi:[1,0,0]
	v_pk_add_f32 v[28:29], v[36:37], v[40:41]
	v_pk_add_f32 v[30:31], v[36:37], v[40:41] neg_lo:[0,1] neg_hi:[0,1]
	v_pk_add_f32 v[84:85], v[50:51], v[52:53]
	v_pk_mul_f32 v[20:21], v[20:21], 0.5 op_sel_hi:[1,0]
	v_mov_b32_e32 v33, v27
	v_mov_b32_e32 v55, v25
	v_pk_add_f32 v[24:25], v[46:47], v[50:51]
	v_pk_fma_f32 v[26:27], v[28:29], 0.5, v[16:17] op_sel_hi:[1,0,1] neg_lo:[1,0,0] neg_hi:[1,0,0]
	v_pk_mul_f32 v[28:29], v[30:31], s[0:1] op_sel_hi:[1,0]
	v_pk_fma_f32 v[46:47], v[84:85], 0.5, v[46:47] op_sel_hi:[1,0,1] neg_lo:[1,0,0] neg_hi:[1,0,0]
	v_pk_add_f32 v[50:51], v[50:51], v[52:53] neg_lo:[0,1] neg_hi:[0,1]
	v_pk_add_f32 v[48:49], v[38:39], v[34:35] neg_lo:[0,1] neg_hi:[0,1]
	v_pk_add_f32 v[30:31], v[22:23], v[20:21] op_sel:[0,1] op_sel_hi:[1,0] neg_lo:[0,1] neg_hi:[0,1]
	v_pk_add_f32 v[42:43], v[18:19], v[32:33]
	v_pk_add_f32 v[44:45], v[24:25], v[52:53]
	;; [unrolled: 1-line block ×3, first 2 shown]
	v_pk_add_f32 v[24:25], v[26:27], v[28:29] op_sel:[0,1] op_sel_hi:[1,0]
	v_pk_add_f32 v[32:33], v[32:33], v[54:55] neg_lo:[0,1] neg_hi:[0,1]
	v_pk_fma_f32 v[52:53], v[50:51], s[0:1], v[46:47] op_sel:[0,0,1] op_sel_hi:[1,0,0]
	v_pk_fma_f32 v[46:47], v[50:51], s[0:1], v[46:47] op_sel:[0,0,1] op_sel_hi:[1,0,0] neg_lo:[1,0,0] neg_hi:[1,0,0]
	v_pk_add_f32 v[20:21], v[26:27], v[28:29] op_sel:[0,1] op_sel_hi:[1,0] neg_lo:[0,1] neg_hi:[0,1]
	v_pk_fma_f32 v[26:27], v[48:49], s[0:1], v[30:31] op_sel_hi:[1,0,1]
	v_pk_fma_f32 v[30:31], v[48:49], s[0:1], v[30:31] op_sel_hi:[1,0,1] neg_lo:[1,0,0] neg_hi:[1,0,0]
	v_pk_fma_f32 v[56:57], v[56:57], 0.5, v[18:19] op_sel_hi:[1,0,1] neg_lo:[1,0,0] neg_hi:[1,0,0]
	v_mov_b32_e32 v19, v25
	v_pk_mul_f32 v[32:33], v[32:33], s[0:1] op_sel_hi:[1,0]
	v_mov_b32_e32 v50, v52
	v_mov_b32_e32 v51, v47
	v_mul_f32_e32 v25, 0xbf5db3d7, v53
	v_pk_add_f32 v[48:49], v[42:43], v[54:55]
	v_mov_b32_e32 v18, v20
	v_mov_b32_e32 v28, v26
	;; [unrolled: 1-line block ×3, first 2 shown]
	v_pk_add_f32 v[54:55], v[32:33], v[56:57] op_sel:[1,0] op_sel_hi:[0,1]
	v_pk_add_f32 v[32:33], v[56:57], v[32:33] op_sel:[0,1] op_sel_hi:[1,0] neg_lo:[0,1] neg_hi:[0,1]
	v_mul_f32_e32 v20, 0x3f5db3d7, v46
	v_fmac_f32_e32 v25, 0.5, v46
	v_pk_mul_f32 v[46:47], v[50:51], 0.5 op_sel_hi:[1,0]
	v_pk_mul_f32 v[42:43], v[28:29], 0.5 op_sel_hi:[1,0]
	v_mov_b32_e32 v56, v32
	v_mov_b32_e32 v57, v55
	v_pk_fma_f32 v[46:47], v[50:51], s[0:1], v[46:47] op_sel:[0,0,1] op_sel_hi:[1,1,0] neg_lo:[0,0,1] neg_hi:[0,0,1]
	v_pk_add_f32 v[58:59], v[48:49], v[44:45]
	v_pk_fma_f32 v[28:29], v[28:29], s[0:1], v[42:43] op_sel:[0,0,1] op_sel_hi:[1,1,0] neg_lo:[0,0,1] neg_hi:[0,0,1]
	v_fmac_f32_e32 v20, 0.5, v53
	v_pk_add_f32 v[50:51], v[56:57], v[46:47]
	v_pk_add_f32 v[44:45], v[48:49], v[44:45] neg_lo:[0,1] neg_hi:[0,1]
	v_pk_add_f32 v[42:43], v[18:19], v[28:29] neg_lo:[0,1] neg_hi:[0,1]
	v_add_f32_e32 v52, v54, v20
	v_add_f32_e32 v53, v33, v25
	v_sub_f32_e32 v32, v54, v20
	v_sub_f32_e32 v33, v33, v25
	ds_write2_b64 v163, v[50:51], v[44:45] offset0:52 offset1:78
	v_pk_add_f32 v[44:45], v[56:57], v[46:47] neg_lo:[0,1] neg_hi:[0,1]
	ds_write2_b64 v163, v[58:59], v[52:53] offset1:26
	ds_write2_b64 v163, v[32:33], v[44:45] offset0:104 offset1:130
	s_and_saveexec_b64 s[0:1], s[2:3]
	s_cbranch_execz .LBB0_15
; %bb.14:
	v_mul_f32_e32 v20, 0x3f5db3d7, v27
	v_mul_f32_e32 v25, 0x3f5db3d7, v30
	v_fma_f32 v20, v30, 0.5, -v20
	v_fmac_f32_e32 v25, 0.5, v27
	v_pk_add_f32 v[16:17], v[16:17], v[36:37]
	v_pk_add_f32 v[22:23], v[22:23], v[38:39] op_sel:[1,0] op_sel_hi:[0,1]
	v_sub_f32_e32 v31, v21, v20
	v_sub_f32_e32 v30, v24, v25
	v_add_f32_e32 v21, v21, v20
	v_add_f32_e32 v20, v24, v25
	v_mad_legacy_u16 v24, v63, s18, v65
	v_pk_add_f32 v[16:17], v[16:17], v[40:41]
	v_pk_add_f32 v[22:23], v[22:23], v[34:35]
	v_lshlrev_b32_e32 v26, 3, v24
	v_pk_add_f32 v[24:25], v[16:17], v[22:23] neg_lo:[0,1] neg_hi:[0,1]
	v_pk_add_f32 v[16:17], v[16:17], v[22:23]
	v_pk_add_f32 v[18:19], v[18:19], v[28:29]
	ds_write2_b64 v26, v[16:17], v[20:21] offset1:26
	ds_write2_b64 v26, v[18:19], v[24:25] offset0:52 offset1:78
	ds_write2_b64 v26, v[30:31], v[42:43] offset0:104 offset1:130
.LBB0_15:
	s_or_b64 exec, exec, s[0:1]
	s_movk_i32 s0, 0x50
	v_mov_b64_e32 v[16:17], s[14:15]
	v_mad_u64_u32 v[36:37], s[0:1], v62, s0, v[16:17]
	s_waitcnt lgkmcnt(0)
	s_barrier
	global_load_dwordx4 v[16:19], v[36:37], off offset:1208
	global_load_dwordx4 v[32:35], v[36:37], off offset:1160
	global_load_dwordx4 v[28:31], v[36:37], off offset:1176
	global_load_dwordx4 v[24:27], v[36:37], off offset:1192
	global_load_dwordx4 v[20:23], v[36:37], off offset:1144
	v_add_u32_e32 v36, 0x2a00, v60
	ds_read2_b64 v[46:49], v60 offset1:156
	ds_read_b64 v[40:41], v60 offset:4992
	v_add_u32_e32 v44, 0x2000, v60
	v_add_u32_e32 v45, 0x1800, v60
	;; [unrolled: 1-line block ×3, first 2 shown]
	ds_read2_b64 v[36:39], v36 offset0:60 offset1:216
	ds_read2_b64 v[50:53], v44 offset0:68 offset1:224
	;; [unrolled: 1-line block ×4, first 2 shown]
	s_mov_b32 s18, 0xbf4178ce
	s_mov_b32 s14, 0xbf27a4f4
	;; [unrolled: 1-line block ×14, first 2 shown]
	s_waitcnt vmcnt(4) lgkmcnt(3)
	v_pk_mul_f32 v[90:91], v[38:39], v[18:19] op_sel:[1,0] op_sel_hi:[0,1]
	v_mov_b32_e32 v44, v17
	v_pk_mul_f32 v[58:59], v[36:37], v[16:17] op_sel:[1,0] op_sel_hi:[0,1]
	v_mov_b32_e32 v88, v19
	s_waitcnt vmcnt(3)
	v_mov_b32_e32 v90, v35
	s_waitcnt vmcnt(2) lgkmcnt(1)
	v_pk_mul_f32 v[92:93], v[54:55], v[28:29] op_sel:[0,1]
	v_mov_b32_e32 v94, v31
	s_waitcnt vmcnt(1)
	v_pk_mul_f32 v[96:97], v[50:51], v[24:25] op_sel:[0,1]
	s_waitcnt vmcnt(0)
	v_pk_mul_f32 v[98:99], v[48:49], v[20:21] op_sel:[0,1]
	v_mov_b32_e32 v100, v23
	v_pk_mul_f32 v[44:45], v[36:37], v[44:45] op_sel:[1,0] op_sel_hi:[0,1]
	v_mov_b32_e32 v59, v58
	v_pk_mul_f32 v[88:89], v[38:39], v[88:89] op_sel:[1,0] op_sel_hi:[0,1]
	v_mov_b32_e32 v58, v91
	v_pk_mul_f32 v[90:91], v[40:41], v[90:91] op_sel_hi:[1,0]
	v_pk_fma_f32 v[106:107], v[54:55], v[28:29], v[92:93] op_sel:[0,0,1] op_sel_hi:[1,1,0] neg_lo:[0,0,1] neg_hi:[0,0,1]
	v_pk_fma_f32 v[54:55], v[54:55], v[28:29], v[92:93] op_sel:[0,0,1] op_sel_hi:[1,0,0]
	v_pk_mul_f32 v[92:93], v[56:57], v[94:95] op_sel_hi:[1,0]
	v_pk_fma_f32 v[94:95], v[50:51], v[24:25], v[96:97] op_sel:[0,0,1] op_sel_hi:[1,1,0] neg_lo:[0,0,1] neg_hi:[0,0,1]
	v_pk_fma_f32 v[50:51], v[50:51], v[24:25], v[96:97] op_sel:[0,0,1] op_sel_hi:[1,0,0]
	v_pk_fma_f32 v[96:97], v[48:49], v[20:21], v[98:99] op_sel:[0,0,1] op_sel_hi:[1,0,0] neg_lo:[0,0,1] neg_hi:[0,0,1]
	v_pk_fma_f32 v[48:49], v[48:49], v[20:21], v[98:99] op_sel:[0,0,1] op_sel_hi:[1,0,0]
	s_waitcnt lgkmcnt(0)
	v_pk_mul_f32 v[98:99], v[84:85], v[100:101] op_sel_hi:[1,0]
	v_pk_mul_f32 v[102:103], v[86:87], v[32:33] op_sel:[0,1]
	v_pk_fma_f32 v[44:45], v[36:37], v[16:17], v[44:45] neg_lo:[0,0,1] neg_hi:[0,0,1]
	v_pk_fma_f32 v[36:37], v[36:37], v[16:17], v[58:59] op_sel:[1,0,0] op_sel_hi:[0,1,1]
	v_pk_fma_f32 v[88:89], v[38:39], v[18:19], v[88:89] neg_lo:[0,0,1] neg_hi:[0,0,1]
	v_pk_fma_f32 v[38:39], v[38:39], v[18:19], v[58:59] op_sel:[1,0,0] op_sel_hi:[0,1,1]
	v_pk_fma_f32 v[58:59], v[40:41], v[34:35], v[90:91] op_sel:[0,0,1] op_sel_hi:[1,1,0] neg_lo:[0,0,1] neg_hi:[0,0,1]
	v_pk_fma_f32 v[40:41], v[40:41], v[34:35], v[90:91] op_sel:[0,0,1] op_sel_hi:[1,0,0]
	v_mov_b32_e32 v95, v51
	v_mov_b32_e32 v50, v96
	;; [unrolled: 1-line block ×3, first 2 shown]
	v_pk_fma_f32 v[90:91], v[84:85], v[22:23], v[98:99] op_sel:[0,0,1] op_sel_hi:[1,1,0] neg_lo:[0,0,1] neg_hi:[0,0,1]
	v_pk_fma_f32 v[84:85], v[84:85], v[22:23], v[98:99] op_sel:[0,0,1] op_sel_hi:[1,0,0]
	v_pk_fma_f32 v[100:101], v[86:87], v[32:33], v[102:103] op_sel:[0,0,1] op_sel_hi:[1,1,0] neg_lo:[0,0,1] neg_hi:[0,0,1]
	v_pk_fma_f32 v[86:87], v[86:87], v[32:33], v[102:103] op_sel:[0,0,1] op_sel_hi:[1,0,0]
	v_mov_b32_e32 v59, v41
	v_mov_b32_e32 v91, v85
	v_pk_add_f32 v[40:41], v[46:47], v[50:51]
	v_mov_b32_e32 v101, v87
	v_pk_add_f32 v[40:41], v[40:41], v[90:91]
	;; [unrolled: 2-line block ×3, first 2 shown]
	v_mov_b32_e32 v107, v55
	v_pk_fma_f32 v[54:55], v[56:57], v[30:31], v[92:93] op_sel:[0,0,1] op_sel_hi:[1,1,0] neg_lo:[0,0,1] neg_hi:[0,0,1]
	v_pk_fma_f32 v[56:57], v[56:57], v[30:31], v[92:93] op_sel:[0,0,1] op_sel_hi:[1,0,0]
	v_pk_add_f32 v[40:41], v[40:41], v[58:59]
	v_pk_mul_f32 v[102:103], v[52:53], v[104:105] op_sel_hi:[1,0]
	v_mov_b32_e32 v55, v57
	v_pk_add_f32 v[40:41], v[40:41], v[106:107]
	v_pk_fma_f32 v[86:87], v[52:53], v[26:27], v[102:103] op_sel:[0,0,1] op_sel_hi:[1,1,0] neg_lo:[0,0,1] neg_hi:[0,0,1]
	v_pk_fma_f32 v[52:53], v[52:53], v[26:27], v[102:103] op_sel:[0,0,1] op_sel_hi:[1,0,0]
	v_pk_add_f32 v[40:41], v[40:41], v[54:55]
	v_pk_add_f32 v[120:121], v[58:59], v[94:95]
	v_pk_add_f32 v[58:59], v[58:59], v[94:95] neg_lo:[0,1] neg_hi:[0,1]
	v_mov_b32_e32 v45, v37
	v_mov_b32_e32 v87, v53
	v_pk_add_f32 v[40:41], v[40:41], v[94:95]
	v_pk_mul_f32 v[94:95], v[58:59], s[18:19] op_sel:[1,0] op_sel_hi:[0,0]
	v_pk_add_f32 v[56:57], v[90:91], v[44:45] neg_lo:[0,1] neg_hi:[0,1]
	v_pk_add_f32 v[40:41], v[40:41], v[86:87]
	v_pk_add_f32 v[98:99], v[100:101], v[86:87]
	v_pk_add_f32 v[86:87], v[100:101], v[86:87] neg_lo:[0,1] neg_hi:[0,1]
	v_pk_fma_f32 v[122:123], v[120:121], s[14:15], v[94:95] op_sel_hi:[1,0,1]
	v_pk_fma_f32 v[94:95], v[120:121], s[14:15], v[94:95] op_sel_hi:[1,0,1] neg_lo:[0,0,1] neg_hi:[0,0,1]
	v_mov_b32_e32 v36, v88
	v_pk_add_f32 v[52:53], v[90:91], v[44:45]
	v_pk_mul_f32 v[50:51], v[56:57], s[30:31] op_sel:[1,0] op_sel_hi:[0,0]
	v_pk_mul_f32 v[114:115], v[86:87], s[24:25] op_sel:[1,0] op_sel_hi:[0,0]
	v_mov_b32_e32 v124, v122
	v_mov_b32_e32 v125, v95
	v_pk_mul_f32 v[126:127], v[58:59], s[36:37] op_sel:[1,0] op_sel_hi:[0,0]
	v_pk_mul_f32 v[132:133], v[58:59], s[38:39] op_sel:[1,0] op_sel_hi:[0,0]
	;; [unrolled: 1-line block ×3, first 2 shown]
	v_mov_b32_e32 v95, v123
	v_pk_add_f32 v[122:123], v[96:97], v[88:89]
	v_pk_add_f32 v[88:89], v[96:97], v[88:89] neg_lo:[0,1] neg_hi:[0,1]
	v_pk_add_f32 v[96:97], v[48:49], v[38:39] op_sel:[1,0] neg_lo:[0,1] neg_hi:[0,1]
	v_pk_fma_f32 v[84:85], v[52:53], s[0:1], v[50:51] op_sel_hi:[1,0,1]
	v_pk_fma_f32 v[50:51], v[52:53], s[0:1], v[50:51] op_sel_hi:[1,0,1] neg_lo:[0,0,1] neg_hi:[0,0,1]
	v_pk_fma_f32 v[116:117], v[98:99], s[0:1], v[114:115] op_sel_hi:[1,0,1]
	v_pk_fma_f32 v[114:115], v[98:99], s[0:1], v[114:115] op_sel_hi:[1,0,1] neg_lo:[0,0,1] neg_hi:[0,0,1]
	v_pk_fma_f32 v[128:129], v[120:121], s[22:23], v[126:127] op_sel_hi:[1,0,1]
	v_pk_fma_f32 v[126:127], v[120:121], s[22:23], v[126:127] op_sel_hi:[1,0,1] neg_lo:[0,0,1] neg_hi:[0,0,1]
	v_pk_fma_f32 v[134:135], v[120:121], s[34:35], v[132:133] op_sel_hi:[1,0,1]
	v_pk_fma_f32 v[132:133], v[120:121], s[34:35], v[132:133] op_sel_hi:[1,0,1] neg_lo:[0,0,1] neg_hi:[0,0,1]
	v_pk_fma_f32 v[140:141], v[120:121], s[26:27], v[138:139] op_sel_hi:[1,0,1]
	v_pk_fma_f32 v[138:139], v[120:121], s[26:27], v[138:139] op_sel_hi:[1,0,1] neg_lo:[0,0,1] neg_hi:[0,0,1]
	v_pk_mul_f32 v[120:121], v[120:121], s[0:1] op_sel_hi:[1,0]
	v_mov_b32_e32 v123, v88
	v_pk_add_f32 v[48:49], v[48:49], v[38:39] op_sel_hi:[1,0]
	s_mov_b32 s1, s30
	v_mov_b32_e32 v150, v96
	v_mov_b32_e32 v151, v88
	;; [unrolled: 1-line block ×3, first 2 shown]
	v_pk_add_f32 v[40:41], v[40:41], v[44:45]
	v_mov_b32_e32 v48, v96
	s_mov_b32 s31, s0
	v_pk_mul_f32 v[38:39], v[122:123], s[0:1]
	v_mov_b32_e32 v148, v122
	v_mov_b32_e32 v149, v49
	v_pk_mul_f32 v[88:89], v[150:151], s[38:39] op_sel_hi:[1,0]
	v_pk_add_f32 v[36:37], v[40:41], v[36:37]
	v_pk_mul_f32 v[40:41], v[56:57], s[18:19] op_sel:[1,0] op_sel_hi:[0,0]
	v_pk_fma_f32 v[146:147], v[96:97], s[30:31], v[38:39] neg_lo:[1,0,0] neg_hi:[1,0,0]
	v_pk_fma_f32 v[150:151], v[148:149], s[34:35], v[88:89] op_sel_hi:[1,0,1]
	v_pk_fma_f32 v[88:89], v[148:149], s[34:35], v[88:89] op_sel_hi:[1,0,1] neg_lo:[0,0,1] neg_hi:[0,0,1]
	v_pk_fma_f32 v[148:149], v[48:49], s[30:31], v[38:39]
	v_pk_fma_f32 v[44:45], v[52:53], s[14:15], v[40:41] op_sel_hi:[1,0,1]
	v_pk_fma_f32 v[40:41], v[52:53], s[14:15], v[40:41] op_sel_hi:[1,0,1] neg_lo:[0,0,1] neg_hi:[0,0,1]
	v_pk_mul_f32 v[108:109], v[86:87], s[28:29] op_sel:[1,0] op_sel_hi:[0,0]
	v_mov_b32_e32 v147, v149
	v_mov_b32_e32 v93, v41
	v_pk_fma_f32 v[110:111], v[98:99], s[26:27], v[108:109] op_sel_hi:[1,0,1]
	v_pk_fma_f32 v[108:109], v[98:99], s[26:27], v[108:109] op_sel_hi:[1,0,1] neg_lo:[0,0,1] neg_hi:[0,0,1]
	v_pk_fma_f32 v[144:145], v[58:59], s[24:25], v[120:121] op_sel:[1,0,0] op_sel_hi:[0,0,1] neg_lo:[1,0,0] neg_hi:[1,0,0]
	v_pk_fma_f32 v[58:59], v[58:59], s[24:25], v[120:121] op_sel:[1,0,0] op_sel_hi:[0,0,1]
	v_pk_fma_f32 v[38:39], v[48:49], s[30:31], v[38:39] neg_lo:[0,0,1] neg_hi:[0,0,1]
	v_pk_add_f32 v[146:147], v[46:47], v[146:147]
	v_mov_b32_e32 v41, v45
	v_pk_mul_f32 v[100:101], v[86:87], s[20:21] op_sel:[1,0] op_sel_hi:[0,0]
	v_mov_b32_e32 v113, v109
	v_mov_b32_e32 v120, v144
	;; [unrolled: 1-line block ×4, first 2 shown]
	v_pk_add_f32 v[144:145], v[106:107], v[54:55]
	v_pk_add_f32 v[54:55], v[106:107], v[54:55] neg_lo:[0,1] neg_hi:[0,1]
	v_mov_b32_e32 v149, v39
	v_pk_add_f32 v[40:41], v[40:41], v[146:147]
	v_mov_b32_e32 v109, v111
	v_mov_b32_e32 v92, v44
	v_pk_fma_f32 v[102:103], v[98:99], s[22:23], v[100:101] op_sel_hi:[1,0,1]
	v_pk_fma_f32 v[100:101], v[98:99], s[22:23], v[100:101] op_sel_hi:[1,0,1] neg_lo:[0,0,1] neg_hi:[0,0,1]
	v_pk_mul_f32 v[106:107], v[54:55], s[40:41] op_sel:[1,0] op_sel_hi:[0,0]
	v_mov_b32_e32 v38, v150
	v_mov_b32_e32 v39, v89
	v_pk_add_f32 v[148:149], v[46:47], v[148:149]
	v_pk_add_f32 v[40:41], v[108:109], v[40:41]
	v_pk_mul_f32 v[108:109], v[86:87], s[18:19] op_sel:[1,0] op_sel_hi:[0,0]
	v_mov_b32_e32 v90, v84
	v_mov_b32_e32 v91, v51
	;; [unrolled: 1-line block ×7, first 2 shown]
	v_pk_fma_f32 v[84:85], v[144:145], s[26:27], v[106:107] op_sel_hi:[1,0,1] neg_lo:[0,0,1] neg_hi:[0,0,1]
	v_pk_fma_f32 v[102:103], v[144:145], s[26:27], v[106:107] op_sel_hi:[1,0,1]
	v_pk_add_f32 v[38:39], v[46:47], v[38:39]
	v_pk_add_f32 v[44:45], v[92:93], v[148:149]
	v_pk_fma_f32 v[110:111], v[98:99], s[14:15], v[108:109] op_sel_hi:[1,0,1] neg_lo:[0,0,1] neg_hi:[0,0,1]
	v_pk_fma_f32 v[108:109], v[98:99], s[14:15], v[108:109] op_sel_hi:[1,0,1]
	s_mov_b32 s27, s40
	v_pk_add_f32 v[38:39], v[90:91], v[38:39]
	v_pk_add_f32 v[44:45], v[112:113], v[44:45]
	v_pk_mul_f32 v[90:91], v[56:57], s[42:43] op_sel:[1,0] op_sel_hi:[0,0]
	v_mov_b32_e32 v112, v110
	v_mov_b32_e32 v113, v109
	;; [unrolled: 1-line block ×3, first 2 shown]
	s_mov_b32 s41, s26
	v_pk_mul_f32 v[110:111], v[122:123], s[26:27]
	v_pk_fma_f32 v[92:93], v[52:53], s[34:35], v[90:91] op_sel_hi:[1,0,1] neg_lo:[0,0,1] neg_hi:[0,0,1]
	v_pk_fma_f32 v[90:91], v[52:53], s[34:35], v[90:91] op_sel_hi:[1,0,1]
	v_pk_fma_f32 v[146:147], v[96:97], s[40:41], v[110:111] neg_lo:[1,0,0] neg_hi:[1,0,0]
	v_pk_fma_f32 v[148:149], v[48:49], s[40:41], v[110:111]
	v_pk_add_f32 v[38:39], v[104:105], v[38:39]
	v_mov_b32_e32 v104, v92
	v_mov_b32_e32 v105, v91
	;; [unrolled: 1-line block ×4, first 2 shown]
	v_pk_fma_f32 v[92:93], v[48:49], s[40:41], v[110:111] neg_lo:[0,0,1] neg_hi:[0,0,1]
	v_pk_add_f32 v[146:147], v[46:47], v[146:147]
	v_mov_b32_e32 v149, v93
	v_pk_add_f32 v[104:105], v[104:105], v[146:147]
	v_pk_add_f32 v[92:93], v[46:47], v[148:149]
	v_mov_b32_e32 v131, v127
	v_pk_add_f32 v[90:91], v[90:91], v[92:93]
	v_pk_add_f32 v[92:93], v[112:113], v[104:105]
	v_pk_add_f32 v[104:105], v[124:125], v[38:39]
	v_mov_b32_e32 v127, v129
	v_pk_mul_f32 v[38:39], v[56:57], s[36:37] op_sel:[1,0] op_sel_hi:[0,0]
	v_mov_b32_e32 v130, v128
	v_pk_add_f32 v[90:91], v[108:109], v[90:91]
	v_pk_add_f32 v[108:109], v[126:127], v[40:41]
	v_pk_fma_f32 v[40:41], v[52:53], s[22:23], v[38:39] op_sel_hi:[1,0,1] neg_lo:[0,0,1] neg_hi:[0,0,1]
	v_pk_fma_f32 v[38:39], v[52:53], s[22:23], v[38:39] op_sel_hi:[1,0,1]
	v_pk_add_f32 v[110:111], v[130:131], v[44:45]
	v_mov_b32_e32 v44, v40
	v_mov_b32_e32 v45, v39
	;; [unrolled: 1-line block ×3, first 2 shown]
	v_pk_mul_f32 v[40:41], v[86:87], s[38:39] op_sel:[1,0] op_sel_hi:[0,0]
	v_pk_fma_f32 v[86:87], v[98:99], s[34:35], v[40:41] op_sel_hi:[1,0,1] neg_lo:[0,0,1] neg_hi:[0,0,1]
	v_pk_fma_f32 v[40:41], v[98:99], s[34:35], v[40:41] op_sel_hi:[1,0,1]
	s_mov_b32 s15, s18
	v_mov_b32_e32 v98, v86
	v_mov_b32_e32 v99, v41
	;; [unrolled: 1-line block ×3, first 2 shown]
	s_mov_b32 s19, s14
	v_pk_mul_f32 v[86:87], v[122:123], s[14:15]
	v_mov_b32_e32 v142, v140
	v_pk_fma_f32 v[112:113], v[96:97], s[18:19], v[86:87] neg_lo:[1,0,0] neg_hi:[1,0,0]
	v_pk_fma_f32 v[124:125], v[48:49], s[18:19], v[86:87]
	v_pk_fma_f32 v[86:87], v[48:49], s[18:19], v[86:87] neg_lo:[0,0,1] neg_hi:[0,0,1]
	v_mov_b32_e32 v113, v125
	v_mov_b32_e32 v125, v87
	v_pk_add_f32 v[86:87], v[46:47], v[124:125]
	v_pk_add_f32 v[112:113], v[46:47], v[112:113]
	;; [unrolled: 1-line block ×3, first 2 shown]
	v_mov_b32_e32 v143, v139
	v_pk_add_f32 v[44:45], v[44:45], v[112:113]
	v_pk_add_f32 v[38:39], v[40:41], v[38:39]
	v_mov_b32_e32 v89, v151
	v_mov_b32_e32 v106, v84
	;; [unrolled: 1-line block ×4, first 2 shown]
	v_pk_mul_f32 v[84:85], v[54:55], s[42:43] op_sel:[1,0] op_sel_hi:[0,0]
	v_pk_add_f32 v[44:45], v[98:99], v[44:45]
	v_pk_add_f32 v[98:99], v[142:143], v[38:39]
	;; [unrolled: 1-line block ×3, first 2 shown]
	v_pk_mul_f32 v[56:57], v[56:57], s[28:29] op_sel:[1,0] op_sel_hi:[0,0]
	v_pk_add_f32 v[90:91], v[58:59], v[90:91]
	v_pk_add_f32 v[38:39], v[50:51], v[38:39]
	v_pk_fma_f32 v[50:51], v[144:145], s[34:35], v[84:85] op_sel_hi:[1,0,1] neg_lo:[0,0,1] neg_hi:[0,0,1]
	v_pk_fma_f32 v[58:59], v[144:145], s[34:35], v[84:85] op_sel_hi:[1,0,1]
	v_pk_fma_f32 v[84:85], v[52:53], s[26:27], v[56:57] op_sel_hi:[1,0,1] neg_lo:[0,0,1] neg_hi:[0,0,1]
	v_pk_fma_f32 v[52:53], v[52:53], s[26:27], v[56:57] op_sel_hi:[1,0,1]
	s_mov_b32 s23, s20
	v_pk_add_f32 v[38:39], v[100:101], v[38:39]
	v_mov_b32_e32 v56, v84
	v_mov_b32_e32 v57, v53
	;; [unrolled: 1-line block ×3, first 2 shown]
	s_mov_b32 s21, s22
	v_pk_mul_f32 v[84:85], v[122:123], s[22:23]
	v_pk_add_f32 v[38:39], v[94:95], v[38:39]
	v_pk_fma_f32 v[88:89], v[96:97], s[20:21], v[84:85] neg_lo:[1,0,0] neg_hi:[1,0,0]
	v_pk_fma_f32 v[94:95], v[48:49], s[20:21], v[84:85]
	v_pk_fma_f32 v[48:49], v[48:49], s[20:21], v[84:85] neg_lo:[0,0,1] neg_hi:[0,0,1]
	v_mov_b32_e32 v139, v141
	v_mov_b32_e32 v89, v95
	v_mov_b32_e32 v95, v49
	v_pk_add_f32 v[86:87], v[138:139], v[44:45]
	v_mov_b32_e32 v45, v59
	v_mov_b32_e32 v59, v51
	v_pk_add_f32 v[84:85], v[46:47], v[88:89]
	v_pk_add_f32 v[46:47], v[46:47], v[94:95]
	v_mov_b32_e32 v118, v116
	v_mov_b32_e32 v119, v115
	;; [unrolled: 1-line block ×3, first 2 shown]
	v_pk_add_f32 v[50:51], v[58:59], v[110:111]
	v_pk_mul_f32 v[58:59], v[54:55], s[18:19] op_sel:[1,0] op_sel_hi:[0,0]
	v_mov_b32_e32 v115, v117
	v_pk_add_f32 v[48:49], v[56:57], v[84:85]
	v_pk_add_f32 v[46:47], v[52:53], v[46:47]
	v_mov_b32_e32 v136, v134
	v_mov_b32_e32 v137, v133
	;; [unrolled: 1-line block ×3, first 2 shown]
	v_pk_add_f32 v[48:49], v[114:115], v[48:49]
	v_pk_add_f32 v[46:47], v[118:119], v[46:47]
	v_pk_fma_f32 v[56:57], v[144:145], s[14:15], v[58:59] op_sel_hi:[1,0,1] neg_lo:[0,0,1] neg_hi:[0,0,1]
	v_pk_fma_f32 v[58:59], v[144:145], s[14:15], v[58:59] op_sel_hi:[1,0,1]
	v_pk_add_f32 v[48:49], v[132:133], v[48:49]
	v_pk_add_f32 v[52:53], v[136:137], v[46:47]
	v_mov_b32_e32 v46, v56
	v_mov_b32_e32 v47, v59
	v_mov_b32_e32 v59, v57
	v_pk_add_f32 v[46:47], v[46:47], v[48:49]
	v_pk_add_f32 v[48:49], v[58:59], v[52:53]
	v_pk_mul_f32 v[52:53], v[144:145], s[0:1] op_sel_hi:[1,0]
	v_pk_add_f32 v[92:93], v[120:121], v[92:93]
	v_pk_fma_f32 v[56:57], v[54:55], s[24:25], v[52:53] op_sel:[1,0,0] op_sel_hi:[0,0,1] neg_lo:[1,0,0] neg_hi:[1,0,0]
	v_pk_fma_f32 v[58:59], v[54:55], s[24:25], v[52:53] op_sel:[1,0,0] op_sel_hi:[0,0,1]
	v_mov_b32_e32 v52, v56
	v_mov_b32_e32 v53, v59
	;; [unrolled: 1-line block ×3, first 2 shown]
	v_pk_mul_f32 v[56:57], v[144:145], s[22:23] op_sel_hi:[1,0]
	v_pk_add_f32 v[38:39], v[106:107], v[38:39]
	v_pk_fma_f32 v[84:85], v[54:55], s[20:21], v[56:57] op_sel:[1,0,0] op_sel_hi:[0,0,1] neg_lo:[1,0,0] neg_hi:[1,0,0]
	v_pk_fma_f32 v[56:57], v[54:55], s[20:21], v[56:57] op_sel:[1,0,0] op_sel_hi:[0,0,1]
	v_mov_b32_e32 v54, v84
	v_mov_b32_e32 v55, v57
	;; [unrolled: 1-line block ×3, first 2 shown]
	v_pk_add_f32 v[40:41], v[102:103], v[104:105]
	v_pk_add_f32 v[44:45], v[44:45], v[108:109]
	v_pk_add_f32 v[52:53], v[52:53], v[86:87]
	v_pk_add_f32 v[58:59], v[58:59], v[98:99]
	v_pk_add_f32 v[54:55], v[54:55], v[92:93]
	v_pk_add_f32 v[56:57], v[56:57], v[90:91]
	v_add_u32_e32 v85, 0x1c00, v60
	v_add_u32_e32 v84, 0x2400, v60
	ds_write2_b64 v60, v[36:37], v[38:39] offset1:156
	ds_write2_b64 v61, v[44:45], v[46:47] offset0:56 offset1:212
	ds_write_b64 v60, v[52:53] offset:4992
	ds_write_b64 v60, v[54:55] offset:6240
	ds_write2_b64 v85, v[56:57], v[58:59] offset0:40 offset1:196
	ds_write2_b64 v84, v[48:49], v[50:51] offset0:96 offset1:252
	ds_write_b64 v60, v[40:41] offset:12480
	s_waitcnt lgkmcnt(0)
	s_barrier
	s_and_saveexec_b64 s[0:1], s[6:7]
	s_cbranch_execz .LBB0_17
; %bb.16:
	v_mov_b32_e32 v61, 0
	v_lshl_add_u64 v[86:87], s[12:13], 0, v[60:61]
	v_add_co_u32_e32 v88, vcc, 0x3000, v86
	s_mov_b64 s[14:15], 0x35a0
	s_nop 0
	v_addc_co_u32_e32 v89, vcc, 0, v87, vcc
	global_load_dwordx2 v[88:89], v[88:89], off offset:1440
	v_lshl_add_u64 v[90:91], v[86:87], 0, s[14:15]
	s_movk_i32 s14, 0x4000
	global_load_dwordx2 v[106:107], v[90:91], off offset:1056
	global_load_dwordx2 v[108:109], v[90:91], off offset:2112
	;; [unrolled: 1-line block ×3, first 2 shown]
	v_add_co_u32_e32 v90, vcc, s14, v86
	s_movk_i32 s14, 0x5000
	s_nop 0
	v_addc_co_u32_e32 v91, vcc, 0, v87, vcc
	global_load_dwordx2 v[112:113], v[90:91], off offset:1568
	global_load_dwordx2 v[114:115], v[90:91], off offset:2624
	;; [unrolled: 1-line block ×3, first 2 shown]
	v_add_co_u32_e32 v90, vcc, s14, v86
	s_movk_i32 s14, 0x6000
	s_nop 0
	v_addc_co_u32_e32 v91, vcc, 0, v87, vcc
	global_load_dwordx2 v[118:119], v[90:91], off offset:640
	global_load_dwordx2 v[120:121], v[90:91], off offset:1696
	;; [unrolled: 1-line block ×4, first 2 shown]
	v_add_co_u32_e32 v86, vcc, s14, v86
	v_add_u32_e32 v61, 0x400, v60
	s_nop 0
	v_addc_co_u32_e32 v87, vcc, 0, v87, vcc
	global_load_dwordx2 v[126:127], v[86:87], off offset:768
	global_load_dwordx2 v[128:129], v[86:87], off offset:1824
	ds_read_b64 v[86:87], v60
	v_add_u32_e32 v132, 0xc00, v60
	v_add_u32_e32 v133, 0x1400, v60
	;; [unrolled: 1-line block ×3, first 2 shown]
	s_waitcnt vmcnt(12) lgkmcnt(0)
	v_mul_f32_e32 v90, v87, v89
	v_mul_f32_e32 v91, v86, v89
	v_fma_f32 v90, v86, v88, -v90
	v_fmac_f32_e32 v91, v87, v88
	ds_write_b64 v60, v[90:91]
	ds_read2_b64 v[86:89], v61 offset0:4 offset1:136
	ds_read2_b64 v[90:93], v132 offset0:12 offset1:144
	ds_read2_b64 v[94:97], v133 offset0:20 offset1:152
	ds_read2_b64 v[98:101], v85 offset0:28 offset1:160
	ds_read2_b64 v[102:105], v84 offset0:36 offset1:168
	s_waitcnt vmcnt(11) lgkmcnt(4)
	v_mul_f32_e32 v130, v87, v107
	v_mul_f32_e32 v131, v86, v107
	s_waitcnt vmcnt(10)
	v_mul_f32_e32 v135, v89, v109
	v_mul_f32_e32 v107, v88, v109
	s_waitcnt vmcnt(9) lgkmcnt(3)
	v_mul_f32_e32 v136, v91, v111
	v_mul_f32_e32 v109, v90, v111
	s_waitcnt vmcnt(8)
	v_mul_f32_e32 v137, v93, v113
	v_mul_f32_e32 v111, v92, v113
	;; [unrolled: 6-line block ×4, first 2 shown]
	v_fma_f32 v130, v86, v106, -v130
	v_fmac_f32_e32 v131, v87, v106
	v_fma_f32 v106, v88, v108, -v135
	v_fmac_f32_e32 v107, v89, v108
	;; [unrolled: 2-line block ×8, first 2 shown]
	ds_write2_b64 v61, v[130:131], v[106:107] offset0:4 offset1:136
	ds_write2_b64 v132, v[108:109], v[110:111] offset0:12 offset1:144
	;; [unrolled: 1-line block ×4, first 2 shown]
	ds_read2_b64 v[86:89], v134 offset0:44 offset1:176
	s_waitcnt vmcnt(3) lgkmcnt(5)
	v_mul_f32_e32 v142, v103, v123
	v_mul_f32_e32 v121, v102, v123
	s_waitcnt vmcnt(2)
	v_mul_f32_e32 v123, v105, v125
	v_mul_f32_e32 v91, v104, v125
	v_fma_f32 v120, v102, v122, -v142
	v_fmac_f32_e32 v121, v103, v122
	v_fma_f32 v90, v104, v124, -v123
	v_fmac_f32_e32 v91, v105, v124
	s_waitcnt vmcnt(1) lgkmcnt(0)
	v_mul_f32_e32 v61, v87, v127
	v_mul_f32_e32 v85, v86, v127
	ds_write2_b64 v84, v[120:121], v[90:91] offset0:36 offset1:168
	v_fma_f32 v84, v86, v126, -v61
	v_fmac_f32_e32 v85, v87, v126
	s_waitcnt vmcnt(0)
	v_mul_f32_e32 v61, v89, v129
	v_mul_f32_e32 v87, v88, v129
	v_fma_f32 v86, v88, v128, -v61
	v_fmac_f32_e32 v87, v89, v128
	ds_write2_b64 v134, v[84:85], v[86:87] offset0:44 offset1:176
.LBB0_17:
	s_or_b64 exec, exec, s[0:1]
	s_waitcnt lgkmcnt(0)
	s_barrier
	s_and_saveexec_b64 s[0:1], s[6:7]
	s_cbranch_execz .LBB0_19
; %bb.18:
	v_add_u32_e32 v40, 0x800, v60
	ds_read2_b64 v[44:47], v40 offset0:8 offset1:140
	v_add_u32_e32 v40, 0x1000, v60
	ds_read2_b64 v[52:55], v40 offset0:16 offset1:148
	v_add_u32_e32 v40, 0x1800, v60
	ds_read2_b64 v[56:59], v40 offset0:24 offset1:156
	v_add_u32_e32 v40, 0x2000, v60
	ds_read2_b64 v[48:51], v40 offset0:32 offset1:164
	v_add_u32_e32 v40, 0x2800, v60
	ds_read2_b64 v[36:39], v60 offset1:132
	ds_read2_b64 v[40:43], v40 offset0:40 offset1:172
	ds_read_b64 v[68:69], v60 offset:12672
.LBB0_19:
	s_or_b64 exec, exec, s[0:1]
	s_waitcnt lgkmcnt(0)
	v_pk_add_f32 v[86:87], v[38:39], v[68:69] neg_lo:[0,1] neg_hi:[0,1]
	v_pk_add_f32 v[110:111], v[38:39], v[68:69]
	s_mov_b32 s42, 0xbf52af12
	v_mov_b32_e32 v84, v110
	v_mov_b32_e32 v110, v87
	v_pk_add_f32 v[88:89], v[44:45], v[42:43] neg_lo:[0,1] neg_hi:[0,1]
	v_pk_add_f32 v[108:109], v[44:45], v[42:43]
	s_mov_b32 s43, 0x3f116cb1
	s_mov_b32 s34, 0xbf6f5d39
	v_mov_b32_e32 v85, v86
	v_mov_b32_e32 v86, v108
	v_mov_b32_e32 v108, v89
	v_pk_add_f32 v[90:91], v[46:47], v[40:41] neg_lo:[0,1] neg_hi:[0,1]
	v_pk_add_f32 v[106:107], v[46:47], v[40:41]
	v_pk_add_f32 v[92:93], v[52:53], v[50:51] neg_lo:[0,1] neg_hi:[0,1]
	v_pk_add_f32 v[104:105], v[52:53], v[50:51]
	;; [unrolled: 2-line block ×4, first 2 shown]
	v_pk_mul_f32 v[112:113], v[110:111], s[42:43]
	s_mov_b32 s0, s43
	s_mov_b32 s1, s42
	;; [unrolled: 1-line block ×3, first 2 shown]
	v_mov_b32_e32 v87, v88
	v_mov_b32_e32 v88, v106
	;; [unrolled: 1-line block ×13, first 2 shown]
	v_pk_fma_f32 v[96:97], v[84:85], s[0:1], v[112:113] neg_lo:[0,0,1] neg_hi:[0,0,1]
	v_pk_fma_f32 v[114:115], v[84:85], s[0:1], v[112:113]
	v_pk_mul_f32 v[116:117], v[108:109], s[34:35]
	s_mov_b32 s14, s35
	s_mov_b32 s15, s34
	;; [unrolled: 1-line block ×3, first 2 shown]
	v_mov_b32_e32 v97, v115
	v_pk_fma_f32 v[98:99], v[86:87], s[14:15], v[116:117] neg_lo:[0,0,1] neg_hi:[0,0,1]
	v_pk_fma_f32 v[118:119], v[86:87], s[14:15], v[116:117]
	s_mov_b32 s39, 0xbf788fa5
	v_pk_add_f32 v[96:97], v[36:37], v[96:97]
	v_mov_b32_e32 v99, v119
	v_pk_mul_f32 v[120:121], v[106:107], s[38:39]
	s_mov_b32 s18, s39
	s_mov_b32 s19, s38
	s_mov_b32 s48, 0x3f29c268
	v_pk_add_f32 v[96:97], v[98:99], v[96:97]
	v_pk_fma_f32 v[98:99], v[88:89], s[18:19], v[120:121] neg_lo:[0,0,1] neg_hi:[0,0,1]
	v_pk_fma_f32 v[122:123], v[88:89], s[18:19], v[120:121]
	s_mov_b32 s49, 0xbf3f9e67
	v_mov_b32_e32 v99, v123
	v_pk_mul_f32 v[124:125], v[104:105], s[48:49]
	s_mov_b32 s22, s49
	s_mov_b32 s23, s48
	s_mov_b32 s36, 0x3f7e222b
	v_pk_add_f32 v[96:97], v[98:99], v[96:97]
	v_pk_fma_f32 v[98:99], v[90:91], s[22:23], v[124:125] neg_lo:[0,0,1] neg_hi:[0,0,1]
	v_pk_fma_f32 v[126:127], v[90:91], s[22:23], v[124:125]
	s_mov_b32 s37, 0x3df6dbef
	;; [unrolled: 9-line block ×3, first 2 shown]
	v_mov_b32_e32 v99, v131
	v_pk_mul_f32 v[132:133], v[100:101], s[44:45]
	s_mov_b32 s24, s45
	s_mov_b32 s25, s44
	v_pk_add_f32 v[96:97], v[98:99], v[96:97]
	v_pk_fma_f32 v[98:99], v[94:95], s[24:25], v[132:133] neg_lo:[0,0,1] neg_hi:[0,0,1]
	v_pk_fma_f32 v[134:135], v[94:95], s[24:25], v[132:133]
	s_mov_b32 s50, 0xbf7e222b
	s_mov_b32 s51, s37
	v_mov_b32_e32 v99, v135
	v_pk_mul_f32 v[136:137], v[110:111], s[50:51]
	s_mov_b32 s20, s37
	s_mov_b32 s21, s50
	v_pk_add_f32 v[96:97], v[98:99], v[96:97]
	v_pk_fma_f32 v[98:99], v[84:85], s[20:21], v[136:137] neg_lo:[0,0,1] neg_hi:[0,0,1]
	v_pk_fma_f32 v[138:139], v[84:85], s[20:21], v[136:137]
	v_pk_mul_f32 v[142:143], v[108:109], s[38:39]
	v_mov_b32_e32 v99, v139
	v_pk_fma_f32 v[144:145], v[86:87], s[18:19], v[142:143] neg_lo:[0,0,1] neg_hi:[0,0,1]
	v_pk_fma_f32 v[140:141], v[86:87], s[18:19], v[142:143]
	v_pk_add_f32 v[98:99], v[36:37], v[98:99]
	v_mov_b32_e32 v145, v141
	s_mov_b32 s26, 0x3f6f5d39
	s_mov_b32 s27, s35
	v_pk_add_f32 v[98:99], v[144:145], v[98:99]
	v_pk_mul_f32 v[144:145], v[106:107], s[26:27]
	s_mov_b32 s40, s35
	s_mov_b32 s41, s26
	v_pk_fma_f32 v[148:149], v[88:89], s[40:41], v[144:145] neg_lo:[0,0,1] neg_hi:[0,0,1]
	v_pk_fma_f32 v[146:147], v[88:89], s[40:41], v[144:145]
	v_pk_mul_f32 v[150:151], v[104:105], s[44:45]
	v_mov_b32_e32 v149, v147
	v_pk_add_f32 v[98:99], v[148:149], v[98:99]
	v_pk_fma_f32 v[152:153], v[90:91], s[24:25], v[150:151] neg_lo:[0,0,1] neg_hi:[0,0,1]
	v_pk_fma_f32 v[148:149], v[90:91], s[24:25], v[150:151]
	v_pk_mul_f32 v[154:155], v[102:103], s[42:43]
	v_mov_b32_e32 v153, v149
	v_pk_add_f32 v[98:99], v[152:153], v[98:99]
	v_pk_fma_f32 v[156:157], v[92:93], s[0:1], v[154:155] neg_lo:[0,0,1] neg_hi:[0,0,1]
	v_pk_fma_f32 v[152:153], v[92:93], s[0:1], v[154:155]
	s_mov_b32 s46, 0xbf29c268
	v_mov_b32_e32 v157, v153
	s_mov_b32 s47, s49
	v_pk_add_f32 v[98:99], v[156:157], v[98:99]
	v_pk_mul_f32 v[156:157], v[100:101], s[46:47]
	s_mov_b32 s28, s49
	s_mov_b32 s29, s46
	v_pk_fma_f32 v[170:171], v[94:95], s[28:29], v[156:157] neg_lo:[0,0,1] neg_hi:[0,0,1]
	v_pk_fma_f32 v[158:159], v[94:95], s[28:29], v[156:157]
	s_nop 0
	v_mov_b32_e32 v171, v159
	v_pk_add_f32 v[98:99], v[170:171], v[98:99]
	s_barrier
	s_and_saveexec_b64 s[26:27], s[6:7]
	s_cbranch_execz .LBB0_21
; %bb.20:
	v_pk_mul_f32 v[170:171], v[84:85], s[0:1]
	v_pk_mul_f32 v[172:173], v[86:87], s[14:15]
	v_pk_add_f32 v[112:113], v[112:113], v[170:171] neg_lo:[0,1] neg_hi:[0,1]
	v_pk_mul_f32 v[174:175], v[88:89], s[18:19]
	v_mov_b32_e32 v115, v113
	v_pk_add_f32 v[112:113], v[36:37], v[114:115]
	v_pk_add_f32 v[114:115], v[116:117], v[172:173] neg_lo:[0,1] neg_hi:[0,1]
	v_pk_mul_f32 v[176:177], v[90:91], s[22:23]
	v_mov_b32_e32 v119, v115
	v_pk_add_f32 v[114:115], v[120:121], v[174:175] neg_lo:[0,1] neg_hi:[0,1]
	v_pk_mul_f32 v[178:179], v[92:93], s[30:31]
	v_mov_b32_e32 v123, v115
	;; [unrolled: 3-line block ×6, first 2 shown]
	v_pk_add_f32 v[116:117], v[142:143], v[184:185] neg_lo:[0,1] neg_hi:[0,1]
	v_pk_mul_f32 v[188:189], v[90:91], s[24:25]
	v_pk_add_f32 v[114:115], v[36:37], v[138:139]
	v_mov_b32_e32 v141, v117
	v_pk_add_f32 v[116:117], v[144:145], v[186:187] neg_lo:[0,1] neg_hi:[0,1]
	v_pk_mul_f32 v[190:191], v[92:93], s[0:1]
	v_pk_add_f32 v[112:113], v[118:119], v[112:113]
	v_pk_add_f32 v[114:115], v[140:141], v[114:115]
	v_mov_b32_e32 v147, v117
	v_pk_add_f32 v[116:117], v[150:151], v[188:189] neg_lo:[0,1] neg_hi:[0,1]
	v_pk_mul_f32 v[192:193], v[94:95], s[28:29]
	v_pk_add_f32 v[38:39], v[38:39], v[36:37]
	v_pk_add_f32 v[112:113], v[122:123], v[112:113]
	;; [unrolled: 1-line block ×3, first 2 shown]
	v_mov_b32_e32 v149, v117
	v_pk_add_f32 v[116:117], v[154:155], v[190:191] neg_lo:[0,1] neg_hi:[0,1]
	v_pk_add_f32 v[38:39], v[44:45], v[38:39]
	v_pk_add_f32 v[112:113], v[126:127], v[112:113]
	;; [unrolled: 1-line block ×3, first 2 shown]
	v_mov_b32_e32 v153, v117
	v_pk_add_f32 v[116:117], v[156:157], v[192:193] neg_lo:[0,1] neg_hi:[0,1]
	v_pk_add_f32 v[38:39], v[46:47], v[38:39]
	v_pk_add_f32 v[112:113], v[130:131], v[112:113]
	;; [unrolled: 1-line block ×3, first 2 shown]
	v_mov_b32_e32 v159, v117
	v_lshlrev_b32_e32 v61, 3, v166
	v_pk_add_f32 v[38:39], v[52:53], v[38:39]
	v_pk_add_f32 v[112:113], v[134:135], v[112:113]
	;; [unrolled: 1-line block ×4, first 2 shown]
	ds_write2_b64 v61, v[112:113], v[114:115] offset0:2 offset1:3
	v_pk_mul_f32 v[112:113], v[110:111], s[34:35]
	v_pk_add_f32 v[38:39], v[56:57], v[38:39]
	v_pk_fma_f32 v[114:115], v[84:85], s[14:15], v[112:113]
	v_pk_fma_f32 v[116:117], v[84:85], s[14:15], v[112:113] neg_lo:[1,0,0] neg_hi:[1,0,0]
	v_pk_mul_f32 v[118:119], v[108:109], s[48:49]
	v_pk_add_f32 v[38:39], v[58:59], v[38:39]
	v_mov_b32_e32 v116, v114
	v_pk_fma_f32 v[120:121], v[86:87], s[22:23], v[118:119]
	v_pk_fma_f32 v[122:123], v[86:87], s[22:23], v[118:119] neg_lo:[1,0,0] neg_hi:[1,0,0]
	v_pk_add_f32 v[38:39], v[48:49], v[38:39]
	v_pk_add_f32 v[116:117], v[36:37], v[116:117]
	v_mov_b32_e32 v122, v120
	v_pk_add_f32 v[38:39], v[50:51], v[38:39]
	s_mov_b32 s41, 0xbeedf032
	v_pk_add_f32 v[116:117], v[122:123], v[116:117]
	v_pk_mul_f32 v[122:123], v[106:107], s[44:45]
	v_pk_add_f32 v[38:39], v[40:41], v[38:39]
	s_mov_b32 s52, s41
	s_mov_b32 s53, s45
	v_pk_fma_f32 v[124:125], v[88:89], s[24:25], v[122:123]
	v_pk_fma_f32 v[126:127], v[88:89], s[24:25], v[122:123] neg_lo:[1,0,0] neg_hi:[1,0,0]
	v_pk_add_f32 v[38:39], v[42:43], v[38:39]
	s_mov_b32 s40, s45
	v_pk_mul_f32 v[40:41], v[110:111], s[52:53]
	v_mov_b32_e32 v126, v124
	v_pk_add_f32 v[194:195], v[68:69], v[38:39]
	v_pk_fma_f32 v[38:39], v[84:85], s[40:41], v[40:41]
	v_pk_fma_f32 v[42:43], v[84:85], s[40:41], v[40:41] neg_lo:[1,0,0] neg_hi:[1,0,0]
	v_pk_add_f32 v[116:117], v[126:127], v[116:117]
	v_pk_mul_f32 v[126:127], v[104:105], s[50:51]
	v_mov_b32_e32 v42, v38
	v_pk_mul_f32 v[44:45], v[108:109], s[42:43]
	v_pk_fma_f32 v[128:129], v[90:91], s[20:21], v[126:127]
	v_pk_fma_f32 v[130:131], v[90:91], s[20:21], v[126:127] neg_lo:[1,0,0] neg_hi:[1,0,0]
	s_mov_b32 s49, 0x3e750f2a
	v_pk_add_f32 v[46:47], v[36:37], v[42:43]
	v_pk_fma_f32 v[42:43], v[86:87], s[0:1], v[44:45]
	v_pk_fma_f32 v[48:49], v[86:87], s[0:1], v[44:45] neg_lo:[1,0,0] neg_hi:[1,0,0]
	v_mov_b32_e32 v130, v128
	s_mov_b32 s52, s49
	s_mov_b32 s53, s39
	v_mov_b32_e32 v48, v42
	v_pk_add_f32 v[116:117], v[130:131], v[116:117]
	s_mov_b32 s48, s39
	v_pk_mul_f32 v[130:131], v[102:103], s[52:53]
	v_pk_add_f32 v[50:51], v[48:49], v[46:47]
	v_pk_mul_f32 v[48:49], v[106:107], s[50:51]
	v_pk_fma_f32 v[132:133], v[92:93], s[48:49], v[130:131]
	v_pk_fma_f32 v[134:135], v[92:93], s[48:49], v[130:131] neg_lo:[1,0,0] neg_hi:[1,0,0]
	s_mov_b32 s51, 0x3f52af12
	v_mov_b32_e32 v134, v132
	s_mov_b32 s54, s51
	s_mov_b32 s55, s43
	v_pk_add_f32 v[116:117], v[134:135], v[116:117]
	s_mov_b32 s50, s43
	v_pk_mul_f32 v[134:135], v[100:101], s[54:55]
	v_pk_mul_f32 v[140:141], v[108:109], s[36:37]
	v_pk_fma_f32 v[136:137], v[94:95], s[50:51], v[134:135]
	v_pk_fma_f32 v[138:139], v[94:95], s[50:51], v[134:135] neg_lo:[1,0,0] neg_hi:[1,0,0]
	v_pk_fma_f32 v[154:155], v[86:87], s[30:31], v[140:141]
	v_mov_b32_e32 v138, v136
	v_pk_add_f32 v[116:117], v[138:139], v[116:117]
	v_pk_mul_f32 v[138:139], v[110:111], s[46:47]
	v_pk_fma_f32 v[156:157], v[86:87], s[30:31], v[140:141] neg_lo:[1,0,0] neg_hi:[1,0,0]
	v_pk_fma_f32 v[150:151], v[84:85], s[28:29], v[138:139]
	v_pk_fma_f32 v[152:153], v[84:85], s[28:29], v[138:139] neg_lo:[1,0,0] neg_hi:[1,0,0]
	v_pk_mul_f32 v[142:143], v[106:107], s[42:43]
	v_mov_b32_e32 v152, v150
	v_pk_add_f32 v[152:153], v[36:37], v[152:153]
	v_mov_b32_e32 v156, v154
	v_pk_add_f32 v[152:153], v[156:157], v[152:153]
	v_pk_fma_f32 v[156:157], v[88:89], s[0:1], v[142:143]
	v_pk_fma_f32 v[158:159], v[88:89], s[0:1], v[142:143] neg_lo:[1,0,0] neg_hi:[1,0,0]
	v_pk_mul_f32 v[144:145], v[104:105], s[52:53]
	v_mov_b32_e32 v158, v156
	v_pk_add_f32 v[152:153], v[158:159], v[152:153]
	v_pk_fma_f32 v[158:159], v[90:91], s[48:49], v[144:145]
	v_pk_fma_f32 v[170:171], v[90:91], s[48:49], v[144:145] neg_lo:[1,0,0] neg_hi:[1,0,0]
	v_pk_mul_f32 v[146:147], v[102:103], s[44:45]
	v_mov_b32_e32 v170, v158
	v_pk_add_f32 v[152:153], v[170:171], v[152:153]
	v_pk_fma_f32 v[170:171], v[92:93], s[24:25], v[146:147]
	v_pk_fma_f32 v[172:173], v[92:93], s[24:25], v[146:147] neg_lo:[1,0,0] neg_hi:[1,0,0]
	v_pk_mul_f32 v[148:149], v[100:101], s[34:35]
	v_mov_b32_e32 v172, v170
	v_pk_add_f32 v[152:153], v[172:173], v[152:153]
	v_pk_fma_f32 v[172:173], v[94:95], s[14:15], v[148:149]
	v_pk_fma_f32 v[174:175], v[94:95], s[14:15], v[148:149] neg_lo:[1,0,0] neg_hi:[1,0,0]
	v_pk_mul_f32 v[110:111], v[110:111], s[38:39]
	v_mov_b32_e32 v174, v172
	v_pk_add_f32 v[152:153], v[174:175], v[152:153]
	v_pk_fma_f32 v[46:47], v[88:89], s[20:21], v[48:49]
	v_pk_fma_f32 v[52:53], v[88:89], s[20:21], v[48:49] neg_lo:[1,0,0] neg_hi:[1,0,0]
	ds_write2_b64 v61, v[116:117], v[152:153] offset0:4 offset1:5
	v_pk_fma_f32 v[116:117], v[84:85], s[18:19], v[110:111]
	v_pk_fma_f32 v[152:153], v[84:85], s[18:19], v[110:111] neg_lo:[1,0,0] neg_hi:[1,0,0]
	v_pk_mul_f32 v[108:109], v[108:109], s[44:45]
	v_mov_b32_e32 v52, v46
	v_mov_b32_e32 v152, v116
	v_pk_fma_f32 v[174:175], v[86:87], s[24:25], v[108:109]
	v_pk_fma_f32 v[176:177], v[86:87], s[24:25], v[108:109] neg_lo:[1,0,0] neg_hi:[1,0,0]
	v_pk_add_f32 v[54:55], v[52:53], v[50:51]
	v_pk_mul_f32 v[52:53], v[104:105], s[34:35]
	v_pk_add_f32 v[152:153], v[36:37], v[152:153]
	v_mov_b32_e32 v176, v174
	v_pk_mul_f32 v[106:107], v[106:107], s[46:47]
	v_pk_fma_f32 v[50:51], v[90:91], s[14:15], v[52:53]
	v_pk_fma_f32 v[56:57], v[90:91], s[14:15], v[52:53] neg_lo:[1,0,0] neg_hi:[1,0,0]
	v_pk_add_f32 v[152:153], v[176:177], v[152:153]
	v_pk_fma_f32 v[176:177], v[88:89], s[28:29], v[106:107]
	v_pk_fma_f32 v[178:179], v[88:89], s[28:29], v[106:107] neg_lo:[1,0,0] neg_hi:[1,0,0]
	v_mov_b32_e32 v56, v50
	v_mov_b32_e32 v178, v176
	v_pk_mul_f32 v[104:105], v[104:105], s[54:55]
	v_pk_fma_f32 v[110:111], v[84:85], s[18:19], v[110:111] neg_lo:[0,0,1] neg_hi:[0,0,1]
	v_pk_add_f32 v[58:59], v[56:57], v[54:55]
	v_pk_mul_f32 v[56:57], v[102:103], s[46:47]
	v_pk_add_f32 v[152:153], v[178:179], v[152:153]
	v_pk_fma_f32 v[178:179], v[90:91], s[50:51], v[104:105]
	v_pk_fma_f32 v[180:181], v[90:91], s[50:51], v[104:105] neg_lo:[1,0,0] neg_hi:[1,0,0]
	v_mov_b32_e32 v111, v117
	v_pk_fma_f32 v[108:109], v[86:87], s[24:25], v[108:109] neg_lo:[0,0,1] neg_hi:[0,0,1]
	v_pk_fma_f32 v[54:55], v[92:93], s[28:29], v[56:57]
	v_pk_fma_f32 v[68:69], v[92:93], s[28:29], v[56:57] neg_lo:[1,0,0] neg_hi:[1,0,0]
	v_mov_b32_e32 v180, v178
	v_pk_mul_f32 v[102:103], v[102:103], s[34:35]
	v_pk_add_f32 v[110:111], v[36:37], v[110:111]
	v_mov_b32_e32 v109, v175
	v_pk_fma_f32 v[106:107], v[88:89], s[28:29], v[106:107] neg_lo:[0,0,1] neg_hi:[0,0,1]
	v_mov_b32_e32 v68, v54
	v_pk_add_f32 v[152:153], v[180:181], v[152:153]
	v_pk_fma_f32 v[180:181], v[92:93], s[14:15], v[102:103]
	v_pk_fma_f32 v[182:183], v[92:93], s[14:15], v[102:103] neg_lo:[1,0,0] neg_hi:[1,0,0]
	v_pk_add_f32 v[108:109], v[108:109], v[110:111]
	v_mov_b32_e32 v107, v177
	v_pk_fma_f32 v[104:105], v[90:91], s[50:51], v[104:105] neg_lo:[0,0,1] neg_hi:[0,0,1]
	v_pk_add_f32 v[196:197], v[68:69], v[58:59]
	v_pk_mul_f32 v[68:69], v[100:101], s[38:39]
	v_mov_b32_e32 v182, v180
	v_pk_mul_f32 v[100:101], v[100:101], s[36:37]
	v_pk_add_f32 v[106:107], v[106:107], v[108:109]
	v_mov_b32_e32 v105, v179
	v_pk_fma_f32 v[102:103], v[92:93], s[14:15], v[102:103] neg_lo:[0,0,1] neg_hi:[0,0,1]
	v_pk_add_f32 v[152:153], v[182:183], v[152:153]
	v_pk_fma_f32 v[182:183], v[94:95], s[30:31], v[100:101]
	v_pk_fma_f32 v[184:185], v[94:95], s[30:31], v[100:101] neg_lo:[1,0,0] neg_hi:[1,0,0]
	v_pk_add_f32 v[104:105], v[104:105], v[106:107]
	v_mov_b32_e32 v103, v181
	v_pk_fma_f32 v[100:101], v[94:95], s[30:31], v[100:101] neg_lo:[0,0,1] neg_hi:[0,0,1]
	v_mov_b32_e32 v184, v182
	v_pk_add_f32 v[102:103], v[102:103], v[104:105]
	v_mov_b32_e32 v101, v183
	v_pk_add_f32 v[152:153], v[184:185], v[152:153]
	v_pk_add_f32 v[100:101], v[100:101], v[102:103]
	ds_write2_b64 v61, v[152:153], v[100:101] offset0:6 offset1:7
	v_pk_fma_f32 v[100:101], v[84:85], s[28:29], v[138:139] neg_lo:[0,0,1] neg_hi:[0,0,1]
	v_pk_fma_f32 v[102:103], v[86:87], s[30:31], v[140:141] neg_lo:[0,0,1] neg_hi:[0,0,1]
	v_mov_b32_e32 v101, v151
	v_pk_add_f32 v[100:101], v[36:37], v[100:101]
	v_mov_b32_e32 v103, v155
	v_pk_add_f32 v[100:101], v[102:103], v[100:101]
	v_pk_fma_f32 v[102:103], v[88:89], s[0:1], v[142:143] neg_lo:[0,0,1] neg_hi:[0,0,1]
	v_pk_fma_f32 v[40:41], v[84:85], s[40:41], v[40:41] neg_lo:[0,0,1] neg_hi:[0,0,1]
	v_mov_b32_e32 v103, v157
	v_pk_add_f32 v[100:101], v[102:103], v[100:101]
	v_pk_fma_f32 v[102:103], v[90:91], s[48:49], v[144:145] neg_lo:[0,0,1] neg_hi:[0,0,1]
	v_pk_fma_f32 v[104:105], v[86:87], s[22:23], v[118:119] neg_lo:[0,0,1] neg_hi:[0,0,1]
	v_mov_b32_e32 v103, v159
	v_pk_add_f32 v[100:101], v[102:103], v[100:101]
	v_pk_fma_f32 v[102:103], v[92:93], s[24:25], v[146:147] neg_lo:[0,0,1] neg_hi:[0,0,1]
	v_mov_b32_e32 v41, v39
	v_mov_b32_e32 v103, v171
	v_pk_add_f32 v[100:101], v[102:103], v[100:101]
	v_pk_fma_f32 v[102:103], v[94:95], s[14:15], v[148:149] neg_lo:[0,0,1] neg_hi:[0,0,1]
	v_pk_fma_f32 v[38:39], v[86:87], s[0:1], v[44:45] neg_lo:[0,0,1] neg_hi:[0,0,1]
	v_mov_b32_e32 v103, v173
	v_pk_add_f32 v[100:101], v[102:103], v[100:101]
	v_pk_fma_f32 v[102:103], v[84:85], s[14:15], v[112:113] neg_lo:[0,0,1] neg_hi:[0,0,1]
	v_mov_b32_e32 v105, v121
	v_mov_b32_e32 v103, v115
	v_pk_add_f32 v[102:103], v[36:37], v[102:103]
	v_pk_add_f32 v[36:37], v[36:37], v[40:41]
	v_mov_b32_e32 v39, v43
	v_pk_add_f32 v[102:103], v[104:105], v[102:103]
	v_pk_fma_f32 v[104:105], v[88:89], s[24:25], v[122:123] neg_lo:[0,0,1] neg_hi:[0,0,1]
	v_pk_add_f32 v[36:37], v[38:39], v[36:37]
	v_pk_fma_f32 v[38:39], v[88:89], s[20:21], v[48:49] neg_lo:[0,0,1] neg_hi:[0,0,1]
	v_mov_b32_e32 v105, v125
	v_mov_b32_e32 v39, v47
	v_pk_add_f32 v[102:103], v[104:105], v[102:103]
	v_pk_fma_f32 v[104:105], v[90:91], s[20:21], v[126:127] neg_lo:[0,0,1] neg_hi:[0,0,1]
	v_pk_add_f32 v[36:37], v[38:39], v[36:37]
	v_pk_fma_f32 v[38:39], v[90:91], s[14:15], v[52:53] neg_lo:[0,0,1] neg_hi:[0,0,1]
	v_mov_b32_e32 v105, v129
	;; [unrolled: 6-line block ×3, first 2 shown]
	v_mov_b32_e32 v39, v55
	v_pk_fma_f32 v[58:59], v[94:95], s[18:19], v[68:69]
	v_pk_fma_f32 v[198:199], v[94:95], s[18:19], v[68:69] neg_lo:[1,0,0] neg_hi:[1,0,0]
	v_pk_add_f32 v[102:103], v[104:105], v[102:103]
	v_pk_fma_f32 v[104:105], v[94:95], s[50:51], v[134:135] neg_lo:[0,0,1] neg_hi:[0,0,1]
	v_pk_add_f32 v[36:37], v[38:39], v[36:37]
	v_pk_fma_f32 v[38:39], v[94:95], s[18:19], v[68:69] neg_lo:[0,0,1] neg_hi:[0,0,1]
	v_mov_b32_e32 v198, v58
	v_mov_b32_e32 v105, v137
	;; [unrolled: 1-line block ×3, first 2 shown]
	v_pk_add_f32 v[196:197], v[198:199], v[196:197]
	v_pk_add_f32 v[102:103], v[104:105], v[102:103]
	;; [unrolled: 1-line block ×3, first 2 shown]
	ds_write2_b64 v61, v[194:195], v[196:197] offset1:1
	ds_write2_b64 v61, v[100:101], v[102:103] offset0:8 offset1:9
	ds_write2_b64 v61, v[98:99], v[96:97] offset0:10 offset1:11
	ds_write_b64 v61, v[36:37] offset:96
.LBB0_21:
	s_or_b64 exec, exec, s[26:27]
	v_add_u32_e32 v36, 0x1300, v60
	s_waitcnt lgkmcnt(0)
	s_barrier
	ds_read2_b64 v[48:51], v36 offset0:16 offset1:250
	v_add_u32_e32 v36, 0x1e00, v60
	ds_read2_b64 v[44:47], v36 offset0:54 offset1:210
	v_add_u32_e32 v36, 0x800, v60
	v_add_u32_e32 v52, 0x2800, v60
	ds_read2_b64 v[40:43], v60 offset1:156
	ds_read2_b64 v[36:39], v36 offset0:56 offset1:212
	ds_read2_b64 v[52:55], v52 offset0:46 offset1:202
	v_mov_b32_e32 v58, v72
	v_mov_b32_e32 v59, v72
	;; [unrolled: 1-line block ×15, first 2 shown]
	s_and_saveexec_b64 s[0:1], s[4:5]
	s_cbranch_execz .LBB0_23
; %bb.22:
	ds_read_b64 v[98:99], v60 offset:6240
	ds_read_b64 v[96:97], v60 offset:13104
.LBB0_23:
	s_or_b64 exec, exec, s[0:1]
	s_waitcnt lgkmcnt(0)
	v_pk_mul_f32 v[72:73], v[72:73], v[52:53]
	v_pk_mul_f32 v[74:75], v[74:75], v[54:55]
	v_pk_fma_f32 v[90:91], v[58:59], v[52:53], v[72:73] op_sel:[0,0,1] op_sel_hi:[1,1,0]
	v_pk_fma_f32 v[52:53], v[58:59], v[52:53], v[72:73] op_sel:[0,0,1] op_sel_hi:[1,1,0] neg_lo:[0,0,1] neg_hi:[0,0,1]
	v_pk_fma_f32 v[58:59], v[56:57], v[54:55], v[74:75] op_sel:[0,0,1] op_sel_hi:[1,1,0]
	v_pk_fma_f32 v[54:55], v[56:57], v[54:55], v[74:75] op_sel:[0,0,1] op_sel_hi:[1,1,0] neg_lo:[0,0,1] neg_hi:[0,0,1]
	v_pk_mul_f32 v[80:81], v[80:81], v[50:51]
	v_mov_b32_e32 v59, v55
	v_pk_mul_f32 v[88:89], v[70:71], v[96:97] op_sel:[0,1]
	v_pk_add_f32 v[54:55], v[48:49], v[58:59] neg_lo:[0,1] neg_hi:[0,1]
	v_pk_fma_f32 v[58:59], v[70:71], v[96:97], v[88:89] op_sel:[0,0,1] op_sel_hi:[1,0,0] neg_lo:[1,0,0] neg_hi:[1,0,0]
	v_pk_fma_f32 v[56:57], v[48:49], 2.0, v[54:55] op_sel_hi:[1,0,1] neg_lo:[0,0,1] neg_hi:[0,0,1]
	v_pk_fma_f32 v[48:49], v[70:71], v[96:97], v[88:89] op_sel:[0,0,1] op_sel_hi:[1,1,0]
	v_pk_fma_f32 v[70:71], v[84:85], v[50:51], v[80:81] op_sel:[0,0,1] op_sel_hi:[1,1,0]
	v_pk_fma_f32 v[50:51], v[84:85], v[50:51], v[80:81] op_sel:[0,0,1] op_sel_hi:[1,1,0] neg_lo:[0,0,1] neg_hi:[0,0,1]
	v_pk_mul_f32 v[78:79], v[78:79], v[44:45]
	v_mov_b32_e32 v71, v51
	v_pk_add_f32 v[50:51], v[40:41], v[70:71] neg_lo:[0,1] neg_hi:[0,1]
	s_nop 0
	v_pk_fma_f32 v[40:41], v[40:41], 2.0, v[50:51] op_sel_hi:[1,0,1] neg_lo:[0,0,1] neg_hi:[0,0,1]
	s_barrier
	ds_write2_b64 v164, v[40:41], v[50:51] offset1:13
	v_pk_fma_f32 v[40:41], v[68:69], v[44:45], v[78:79] op_sel:[0,0,1] op_sel_hi:[1,1,0]
	v_pk_fma_f32 v[44:45], v[68:69], v[44:45], v[78:79] op_sel:[0,0,1] op_sel_hi:[1,1,0] neg_lo:[0,0,1] neg_hi:[0,0,1]
	v_pk_mul_f32 v[76:77], v[76:77], v[46:47]
	v_mov_b32_e32 v41, v45
	v_pk_add_f32 v[40:41], v[42:43], v[40:41] neg_lo:[0,1] neg_hi:[0,1]
	v_mov_b32_e32 v91, v53
	v_pk_fma_f32 v[42:43], v[42:43], 2.0, v[40:41] op_sel_hi:[1,0,1] neg_lo:[0,0,1] neg_hi:[0,0,1]
	ds_write2_b64 v162, v[42:43], v[40:41] offset1:13
	v_pk_fma_f32 v[40:41], v[86:87], v[46:47], v[76:77] op_sel:[0,0,1] op_sel_hi:[1,1,0]
	v_pk_fma_f32 v[42:43], v[86:87], v[46:47], v[76:77] op_sel:[0,0,1] op_sel_hi:[1,1,0] neg_lo:[0,0,1] neg_hi:[0,0,1]
	v_mov_b32_e32 v49, v59
	v_mov_b32_e32 v41, v43
	v_pk_add_f32 v[52:53], v[38:39], v[90:91] neg_lo:[0,1] neg_hi:[0,1]
	v_pk_add_f32 v[48:49], v[98:99], v[48:49] neg_lo:[0,1] neg_hi:[0,1]
	;; [unrolled: 1-line block ×3, first 2 shown]
	v_pk_fma_f32 v[38:39], v[38:39], 2.0, v[52:53] op_sel_hi:[1,0,1] neg_lo:[0,0,1] neg_hi:[0,0,1]
	v_pk_fma_f32 v[58:59], v[98:99], 2.0, v[48:49] op_sel_hi:[1,0,1] neg_lo:[0,0,1] neg_hi:[0,0,1]
	;; [unrolled: 1-line block ×3, first 2 shown]
	ds_write2_b64 v165, v[36:37], v[40:41] offset1:13
	ds_write2_b64 v167, v[38:39], v[52:53] offset1:13
	;; [unrolled: 1-line block ×3, first 2 shown]
	s_and_saveexec_b64 s[0:1], s[4:5]
	s_cbranch_execz .LBB0_25
; %bb.24:
	v_mad_legacy_u16 v36, v160, 26, v161
	v_lshlrev_b32_e32 v36, 3, v36
	ds_write2_b64 v36, v[58:59], v[48:49] offset1:13
.LBB0_25:
	s_or_b64 exec, exec, s[0:1]
	s_waitcnt lgkmcnt(0)
	s_barrier
	ds_read_b64 v[72:73], v60
	ds_read_b64 v[94:95], v60 offset:2288
	ds_read_b64 v[92:93], v60 offset:4576
	;; [unrolled: 1-line block ×5, first 2 shown]
	v_mov_b32_e32 v80, v12
	v_mov_b32_e32 v81, v12
	;; [unrolled: 1-line block ×15, first 2 shown]
	s_and_saveexec_b64 s[0:1], s[2:3]
	s_cbranch_execz .LBB0_27
; %bb.26:
	ds_read_b64 v[38:39], v60 offset:1248
	ds_read_b64 v[52:53], v60 offset:3536
	;; [unrolled: 1-line block ×6, first 2 shown]
.LBB0_27:
	s_or_b64 exec, exec, s[0:1]
	s_waitcnt lgkmcnt(4)
	v_pk_mul_f32 v[12:13], v[12:13], v[94:95]
	s_waitcnt lgkmcnt(3)
	v_pk_mul_f32 v[14:15], v[14:15], v[92:93]
	;; [unrolled: 2-line block ×3, first 2 shown]
	v_pk_fma_f32 v[96:97], v[80:81], v[94:95], v[12:13] op_sel:[0,0,1] op_sel_hi:[1,1,0]
	v_pk_fma_f32 v[12:13], v[80:81], v[94:95], v[12:13] op_sel:[0,0,1] op_sel_hi:[1,1,0] neg_lo:[0,0,1] neg_hi:[0,0,1]
	v_pk_fma_f32 v[80:81], v[78:79], v[92:93], v[14:15] op_sel:[0,0,1] op_sel_hi:[1,1,0]
	v_pk_fma_f32 v[14:15], v[78:79], v[92:93], v[14:15] op_sel:[0,0,1] op_sel_hi:[1,1,0] neg_lo:[0,0,1] neg_hi:[0,0,1]
	s_waitcnt lgkmcnt(1)
	v_pk_mul_f32 v[10:11], v[10:11], v[88:89]
	v_mov_b32_e32 v81, v15
	v_pk_fma_f32 v[14:15], v[76:77], v[90:91], v[8:9] op_sel:[0,0,1] op_sel_hi:[1,1,0]
	v_pk_fma_f32 v[8:9], v[76:77], v[90:91], v[8:9] op_sel:[0,0,1] op_sel_hi:[1,1,0] neg_lo:[0,0,1] neg_hi:[0,0,1]
	s_waitcnt lgkmcnt(0)
	v_pk_mul_f32 v[82:83], v[82:83], v[84:85]
	v_mov_b32_e32 v15, v9
	v_pk_fma_f32 v[8:9], v[74:75], v[88:89], v[10:11] op_sel:[0,0,1] op_sel_hi:[1,1,0]
	v_pk_fma_f32 v[10:11], v[74:75], v[88:89], v[10:11] op_sel:[0,0,1] op_sel_hi:[1,1,0] neg_lo:[0,0,1] neg_hi:[0,0,1]
	v_pk_fma_f32 v[74:75], v[86:87], v[84:85], v[82:83] op_sel:[0,0,1] op_sel_hi:[1,1,0] neg_lo:[0,0,1] neg_hi:[0,0,1]
	v_mov_b32_e32 v9, v11
	v_pk_fma_f32 v[10:11], v[86:87], v[84:85], v[82:83] op_sel:[0,0,1] op_sel_hi:[1,1,0]
	s_mov_b32 s0, -0.5
	v_mov_b32_e32 v11, v75
	v_pk_add_f32 v[74:75], v[72:73], v[80:81]
	s_mov_b32 s1, 0x3f5db3d7
	v_mov_b32_e32 v97, v13
	v_pk_add_f32 v[74:75], v[74:75], v[8:9]
	v_pk_add_f32 v[76:77], v[14:15], v[10:11]
	;; [unrolled: 1-line block ×3, first 2 shown]
	v_pk_add_f32 v[8:9], v[80:81], v[8:9] neg_lo:[0,1] neg_hi:[0,1]
	s_mov_b32 s14, s1
	v_mov_b32_e32 v12, v96
	v_pk_add_f32 v[78:79], v[14:15], v[10:11] neg_lo:[0,1] neg_hi:[0,1]
	v_pk_add_f32 v[14:15], v[96:97], v[14:15]
	v_fmac_f32_e32 v13, -0.5, v77
	v_pk_mul_f32 v[8:9], v[8:9], s[14:15] op_sel_hi:[1,0]
	s_mov_b32 s14, 0.5
	v_fmac_f32_e32 v12, -0.5, v76
	v_pk_add_f32 v[10:11], v[14:15], v[10:11]
	v_fmamk_f32 v14, v78, 0x3f5db3d7, v13
	s_mov_b32 s18, s1
	s_mov_b32 s19, s14
	v_fmamk_f32 v76, v79, 0xbf5db3d7, v12
	v_pk_fma_f32 v[72:73], -0.5, v[82:83], v[72:73] op_sel_hi:[0,1,1]
	s_mov_b32 s15, s1
	v_pk_mul_f32 v[14:15], v[14:15], s[18:19] op_sel_hi:[0,1]
	v_pk_add_f32 v[80:81], v[72:73], v[8:9] op_sel:[0,1] op_sel_hi:[1,0] neg_lo:[0,1] neg_hi:[0,1]
	v_pk_add_f32 v[8:9], v[72:73], v[8:9] op_sel:[0,1] op_sel_hi:[1,0]
	v_pk_fma_f32 v[82:83], v[76:77], s[14:15], v[14:15] neg_lo:[0,0,1] neg_hi:[0,0,1]
	v_pk_fma_f32 v[14:15], v[76:77], s[14:15], v[14:15] op_sel_hi:[0,1,1]
	v_mov_b32_e32 v72, v80
	v_mov_b32_e32 v73, v9
	;; [unrolled: 1-line block ×3, first 2 shown]
	v_fmac_f32_e32 v12, 0x3f5db3d7, v79
	v_fmac_f32_e32 v13, 0xbf5db3d7, v78
	v_pk_add_f32 v[78:79], v[74:75], v[10:11]
	v_pk_add_f32 v[14:15], v[72:73], v[82:83]
	s_barrier
	ds_write2_b64 v163, v[78:79], v[14:15] offset1:26
	v_mov_b32_e32 v14, v13
	v_pk_mul_f32 v[14:15], v[14:15], s[18:19] op_sel_hi:[0,1]
	v_pk_fma_f32 v[12:13], v[12:13], s[0:1], v[14:15] op_sel_hi:[0,1,1] neg_lo:[0,0,1] neg_hi:[0,0,1]
	v_mov_b32_e32 v9, v81
	v_pk_add_f32 v[14:15], v[8:9], v[12:13]
	v_pk_add_f32 v[10:11], v[74:75], v[10:11] neg_lo:[0,1] neg_hi:[0,1]
	v_mov_b32_e32 v46, v34
	v_mov_b32_e32 v47, v34
	v_mov_b32_e32 v34, v35
	v_mov_b32_e32 v44, v28
	v_mov_b32_e32 v45, v28
	v_mov_b32_e32 v28, v29
	v_mov_b32_e32 v42, v30
	v_mov_b32_e32 v43, v30
	v_mov_b32_e32 v30, v31
	v_mov_b32_e32 v40, v24
	v_mov_b32_e32 v41, v24
	v_mov_b32_e32 v24, v25
	v_mov_b32_e32 v36, v20
	v_mov_b32_e32 v37, v20
	v_mov_b32_e32 v20, v21
	v_mov_b32_e32 v70, v22
	v_mov_b32_e32 v71, v22
	v_mov_b32_e32 v22, v23
	v_mov_b32_e32 v68, v32
	v_mov_b32_e32 v69, v32
	v_mov_b32_e32 v32, v33
	v_mov_b32_e32 v50, v26
	v_mov_b32_e32 v51, v26
	v_mov_b32_e32 v26, v27
	s_mov_b32 s4, 0xbf5db3d7
	ds_write2_b64 v163, v[14:15], v[10:11] offset0:52 offset1:78
	v_pk_add_f32 v[10:11], v[72:73], v[82:83] neg_lo:[0,1] neg_hi:[0,1]
	v_pk_add_f32 v[8:9], v[8:9], v[12:13] neg_lo:[0,1] neg_hi:[0,1]
	ds_write2_b64 v163, v[10:11], v[8:9] offset0:104 offset1:130
	s_and_saveexec_b64 s[14:15], s[2:3]
	s_cbranch_execz .LBB0_29
; %bb.28:
	v_pk_mul_f32 v[8:9], v[2:3], v[56:57] op_sel:[0,1]
	v_pk_mul_f32 v[10:11], v[6:7], v[58:59] op_sel:[0,1]
	v_pk_fma_f32 v[74:75], v[2:3], v[56:57], v[8:9] op_sel:[0,0,1] op_sel_hi:[1,1,0]
	v_pk_fma_f32 v[2:3], v[2:3], v[56:57], v[8:9] op_sel:[0,0,1] op_sel_hi:[1,0,0] neg_lo:[1,0,0] neg_hi:[1,0,0]
	v_pk_mul_f32 v[14:15], v[4:5], v[54:55] op_sel:[0,1]
	v_mov_b32_e32 v75, v3
	v_pk_fma_f32 v[2:3], v[6:7], v[58:59], v[10:11] op_sel:[0,0,1] op_sel_hi:[1,1,0]
	v_pk_fma_f32 v[6:7], v[6:7], v[58:59], v[10:11] op_sel:[0,0,1] op_sel_hi:[1,0,0] neg_lo:[1,0,0] neg_hi:[1,0,0]
	v_pk_mul_f32 v[72:73], v[66:67], v[48:49] op_sel:[0,1]
	s_movk_i32 s2, 0x9c
	v_mov_b32_e32 v3, v7
	v_pk_fma_f32 v[56:57], v[4:5], v[54:55], v[14:15] op_sel:[0,0,1] op_sel_hi:[1,1,0]
	v_pk_fma_f32 v[4:5], v[4:5], v[54:55], v[14:15] op_sel:[0,0,1] op_sel_hi:[1,0,0] neg_lo:[1,0,0] neg_hi:[1,0,0]
	v_mad_legacy_u16 v61, v63, s2, v65
	v_pk_add_f32 v[6:7], v[2:3], v[74:75]
	v_pk_add_f32 v[8:9], v[74:75], v[2:3] neg_lo:[0,1] neg_hi:[0,1]
	s_mov_b32 s2, s1
	v_mov_b32_e32 v57, v5
	v_pk_fma_f32 v[4:5], v[66:67], v[48:49], v[72:73] op_sel:[0,0,1] op_sel_hi:[1,1,0]
	v_pk_fma_f32 v[14:15], v[66:67], v[48:49], v[72:73] op_sel:[0,0,1] op_sel_hi:[1,0,0] neg_lo:[1,0,0] neg_hi:[1,0,0]
	v_pk_mul_f32 v[12:13], v[0:1], v[52:53] op_sel:[0,1]
	v_pk_fma_f32 v[6:7], -0.5, v[6:7], v[38:39] op_sel_hi:[0,1,1]
	v_pk_mul_f32 v[8:9], v[8:9], s[2:3] op_sel_hi:[1,0]
	v_mov_b32_e32 v5, v15
	v_pk_add_f32 v[10:11], v[8:9], v[6:7] op_sel:[1,0] op_sel_hi:[0,1]
	v_pk_add_f32 v[6:7], v[6:7], v[8:9] op_sel:[0,1] op_sel_hi:[1,0] neg_lo:[0,1] neg_hi:[0,1]
	v_pk_add_f32 v[14:15], v[56:57], v[4:5]
	v_pk_fma_f32 v[48:49], v[0:1], v[52:53], v[12:13] op_sel:[0,0,1] op_sel_hi:[1,0,0]
	v_pk_fma_f32 v[0:1], v[0:1], v[52:53], v[12:13] op_sel:[0,0,1] op_sel_hi:[1,0,0] neg_lo:[1,0,0] neg_hi:[1,0,0]
	v_mov_b32_e32 v9, v7
	v_mov_b32_e32 v49, v1
	;; [unrolled: 1-line block ×3, first 2 shown]
	v_pk_add_f32 v[12:13], v[56:57], v[4:5] neg_lo:[0,1] neg_hi:[0,1]
	v_fmac_f32_e32 v1, -0.5, v15
	v_mov_b32_e32 v8, v10
	v_fmac_f32_e32 v7, -0.5, v14
	v_fmamk_f32 v10, v12, 0xbf5db3d7, v1
	v_fmac_f32_e32 v1, 0x3f5db3d7, v12
	v_fmamk_f32 v0, v13, 0x3f5db3d7, v7
	v_fmac_f32_e32 v7, 0xbf5db3d7, v13
	v_mul_f32_e32 v52, 0.5, v1
	v_fmac_f32_e32 v52, 0x3f5db3d7, v7
	v_mul_f32_e32 v53, 0xbf5db3d7, v1
	v_pk_add_f32 v[12:13], v[48:49], v[56:57]
	s_mov_b32 s5, s0
	v_pk_add_f32 v[38:39], v[74:75], v[38:39]
	v_fmac_f32_e32 v53, 0.5, v7
	v_pk_add_f32 v[4:5], v[12:13], v[4:5]
	v_sub_f32_e32 v1, v11, v52
	v_pk_mul_f32 v[12:13], v[10:11], s[4:5] op_sel_hi:[0,1]
	v_pk_add_f32 v[2:3], v[2:3], v[38:39]
	v_lshlrev_b32_e32 v61, 3, v61
	v_pk_fma_f32 v[12:13], v[0:1], s[0:1], v[12:13] op_sel_hi:[0,1,1]
	v_sub_f32_e32 v0, v6, v53
	v_pk_add_f32 v[38:39], v[2:3], v[4:5] neg_lo:[0,1] neg_hi:[0,1]
	v_add_f32_e32 v7, v52, v11
	v_add_f32_e32 v6, v53, v6
	v_pk_add_f32 v[2:3], v[4:5], v[2:3]
	ds_write2_b64 v61, v[2:3], v[6:7] offset1:26
	v_pk_add_f32 v[2:3], v[12:13], v[8:9]
	v_pk_add_f32 v[14:15], v[8:9], v[12:13] neg_lo:[0,1] neg_hi:[0,1]
	ds_write2_b64 v61, v[2:3], v[38:39] offset0:52 offset1:78
	ds_write2_b64 v61, v[0:1], v[14:15] offset0:104 offset1:130
.LBB0_29:
	s_or_b64 exec, exec, s[14:15]
	v_add_u32_e32 v61, 0x800, v60
	s_waitcnt lgkmcnt(0)
	s_barrier
	ds_read2_b64 v[4:7], v61 offset0:56 offset1:212
	ds_read2_b64 v[0:3], v60 offset1:156
	ds_read_b64 v[38:39], v60 offset:4992
	v_add_u32_e32 v8, 0x1800, v60
	v_add_u32_e32 v48, 0x2a00, v60
	s_waitcnt lgkmcnt(2)
	v_pk_mul_f32 v[22:23], v[22:23], v[4:5]
	ds_read2_b64 v[8:11], v8 offset0:12 offset1:168
	ds_read2_b64 v[52:55], v48 offset0:60 offset1:216
	v_pk_fma_f32 v[48:49], v[70:71], v[4:5], v[22:23] op_sel:[0,0,1] op_sel_hi:[1,1,0]
	v_pk_fma_f32 v[4:5], v[70:71], v[4:5], v[22:23] op_sel:[0,0,1] op_sel_hi:[1,1,0] neg_lo:[0,0,1] neg_hi:[0,0,1]
	v_add_u32_e32 v12, 0x2000, v60
	v_mov_b32_e32 v49, v5
	v_pk_mul_f32 v[4:5], v[32:33], v[6:7]
	ds_read2_b64 v[12:15], v12 offset0:68 offset1:224
	v_pk_fma_f32 v[22:23], v[68:69], v[6:7], v[4:5] op_sel:[0,0,1] op_sel_hi:[1,1,0]
	v_pk_fma_f32 v[4:5], v[68:69], v[6:7], v[4:5] op_sel:[0,0,1] op_sel_hi:[1,1,0] neg_lo:[0,0,1] neg_hi:[0,0,1]
	s_mov_b32 s18, 0xbf0a6770
	v_mov_b32_e32 v23, v5
	s_waitcnt lgkmcnt(3)
	v_pk_mul_f32 v[4:5], v[34:35], v[38:39]
	s_mov_b32 s0, 0x3f575c64
	v_pk_fma_f32 v[6:7], v[46:47], v[38:39], v[4:5] op_sel:[0,0,1] op_sel_hi:[1,1,0]
	v_pk_fma_f32 v[4:5], v[46:47], v[38:39], v[4:5] op_sel:[0,0,1] op_sel_hi:[1,1,0] neg_lo:[0,0,1] neg_hi:[0,0,1]
	s_mov_b32 s28, 0xbf68dda4
	v_mov_b32_e32 v7, v5
	s_waitcnt lgkmcnt(2)
	v_pk_mul_f32 v[4:5], v[28:29], v[8:9]
	s_movk_i32 s3, 0x2000
	v_pk_fma_f32 v[28:29], v[44:45], v[8:9], v[4:5] op_sel:[0,0,1] op_sel_hi:[1,1,0]
	v_pk_fma_f32 v[4:5], v[44:45], v[8:9], v[4:5] op_sel:[0,0,1] op_sel_hi:[1,1,0] neg_lo:[0,0,1] neg_hi:[0,0,1]
	s_mov_b32 s2, 0x3ed4b147
	v_mov_b32_e32 v29, v5
	v_pk_mul_f32 v[4:5], v[30:31], v[10:11]
	s_mov_b32 s14, 0xbf7d64f0
	v_pk_fma_f32 v[8:9], v[42:43], v[10:11], v[4:5] op_sel:[0,0,1] op_sel_hi:[1,1,0]
	v_pk_fma_f32 v[4:5], v[42:43], v[10:11], v[4:5] op_sel:[0,0,1] op_sel_hi:[1,1,0] neg_lo:[0,0,1] neg_hi:[0,0,1]
	s_mov_b32 s4, 0xbe11bafb
	v_mov_b32_e32 v9, v5
	s_waitcnt lgkmcnt(0)
	v_pk_mul_f32 v[4:5], v[24:25], v[12:13]
	s_mov_b32 s22, 0xbf4178ce
	v_pk_fma_f32 v[10:11], v[40:41], v[12:13], v[4:5] op_sel:[0,0,1] op_sel_hi:[1,1,0]
	v_pk_fma_f32 v[4:5], v[40:41], v[12:13], v[4:5] op_sel:[0,0,1] op_sel_hi:[1,1,0] neg_lo:[0,0,1] neg_hi:[0,0,1]
	s_mov_b32 s20, 0xbf27a4f4
	v_mov_b32_e32 v11, v5
	v_pk_mul_f32 v[4:5], v[26:27], v[14:15]
	s_mov_b32 s26, 0xbe903f40
	v_pk_fma_f32 v[12:13], v[50:51], v[14:15], v[4:5] op_sel:[0,0,1] op_sel_hi:[1,1,0]
	v_pk_fma_f32 v[4:5], v[50:51], v[14:15], v[4:5] op_sel:[0,0,1] op_sel_hi:[1,1,0] neg_lo:[0,0,1] neg_hi:[0,0,1]
	s_mov_b32 s24, 0xbf75a155
	v_mov_b32_e32 v13, v5
	v_pk_mul_f32 v[4:5], v[16:17], v[52:53] op_sel:[1,0]
	s_mov_b32 s30, 0x3f7d64f0
	v_pk_fma_f32 v[14:15], v[16:17], v[52:53], v[4:5] op_sel:[0,0,1] op_sel_hi:[1,1,0]
	v_pk_fma_f32 v[4:5], v[16:17], v[52:53], v[4:5] op_sel:[0,0,1] op_sel_hi:[0,1,0] neg_lo:[0,0,1] neg_hi:[0,0,1]
	v_mov_b32_e32 v15, v5
	v_pk_mul_f32 v[4:5], v[18:19], v[54:55] op_sel:[1,0]
	v_pk_add_f32 v[26:27], v[48:49], v[14:15]
	v_pk_fma_f32 v[16:17], v[18:19], v[54:55], v[4:5] op_sel:[0,0,1] op_sel_hi:[1,1,0]
	v_pk_fma_f32 v[4:5], v[18:19], v[54:55], v[4:5] op_sel:[0,0,1] op_sel_hi:[0,1,0] neg_lo:[0,0,1] neg_hi:[0,0,1]
	v_mov_b32_e32 v17, v5
	v_pk_mul_f32 v[4:5], v[20:21], v[2:3]
	s_mov_b32 s34, 0x3f0a6770
	v_pk_fma_f32 v[18:19], v[36:37], v[2:3], v[4:5] op_sel:[0,0,1] op_sel_hi:[1,1,0]
	v_pk_fma_f32 v[2:3], v[36:37], v[2:3], v[4:5] op_sel:[0,0,1] op_sel_hi:[1,1,0] neg_lo:[0,0,1] neg_hi:[0,0,1]
	s_nop 0
	v_mov_b32_e32 v19, v3
	v_pk_add_f32 v[2:3], v[0:1], v[18:19]
	v_pk_add_f32 v[4:5], v[18:19], v[16:17]
	;; [unrolled: 1-line block ×3, first 2 shown]
	s_nop 0
	v_pk_add_f32 v[2:3], v[2:3], v[22:23]
	s_nop 0
	v_pk_add_f32 v[2:3], v[2:3], v[6:7]
	;; [unrolled: 2-line block ×7, first 2 shown]
	v_pk_add_f32 v[14:15], v[48:49], v[14:15] neg_lo:[0,1] neg_hi:[0,1]
	v_pk_add_f32 v[2:3], v[2:3], v[16:17]
	v_pk_add_f32 v[16:17], v[18:19], v[16:17] neg_lo:[0,1] neg_hi:[0,1]
	v_pk_mul_f32 v[30:31], v[14:15], s[28:29] op_sel_hi:[1,0]
	v_pk_mul_f32 v[18:19], v[16:17], s[18:19] op_sel_hi:[1,0]
	v_pk_fma_f32 v[32:33], v[26:27], s[2:3], v[30:31] op_sel:[0,0,1] op_sel_hi:[1,0,0]
	v_pk_fma_f32 v[20:21], v[4:5], s[0:1], v[18:19] op_sel:[0,0,1] op_sel_hi:[1,0,0]
	v_pk_fma_f32 v[18:19], v[4:5], s[0:1], v[18:19] op_sel:[0,0,1] op_sel_hi:[1,0,0] neg_lo:[0,0,1] neg_hi:[0,0,1]
	v_mov_b32_e32 v24, v20
	v_mov_b32_e32 v25, v19
	v_pk_fma_f32 v[30:31], v[26:27], s[2:3], v[30:31] op_sel:[0,0,1] op_sel_hi:[1,0,0] neg_lo:[0,0,1] neg_hi:[0,0,1]
	v_pk_add_f32 v[24:25], v[0:1], v[24:25]
	v_mov_b32_e32 v34, v32
	v_mov_b32_e32 v35, v31
	v_pk_add_f32 v[24:25], v[34:35], v[24:25]
	v_pk_add_f32 v[34:35], v[22:23], v[12:13]
	v_pk_add_f32 v[12:13], v[22:23], v[12:13] neg_lo:[0,1] neg_hi:[0,1]
	v_pk_mul_f32 v[48:49], v[14:15], s[22:23] op_sel_hi:[1,0]
	v_pk_mul_f32 v[22:23], v[12:13], s[14:15] op_sel_hi:[1,0]
	v_pk_fma_f32 v[50:51], v[26:27], s[20:21], v[48:49] op_sel:[0,0,1] op_sel_hi:[1,0,0]
	v_pk_fma_f32 v[36:37], v[34:35], s[4:5], v[22:23] op_sel:[0,0,1] op_sel_hi:[1,0,0]
	v_pk_fma_f32 v[22:23], v[34:35], s[4:5], v[22:23] op_sel:[0,0,1] op_sel_hi:[1,0,0] neg_lo:[0,0,1] neg_hi:[0,0,1]
	v_mov_b32_e32 v38, v36
	v_mov_b32_e32 v39, v23
	v_pk_add_f32 v[24:25], v[38:39], v[24:25]
	v_pk_add_f32 v[38:39], v[6:7], v[10:11]
	v_pk_add_f32 v[6:7], v[6:7], v[10:11] neg_lo:[0,1] neg_hi:[0,1]
	v_pk_fma_f32 v[48:49], v[26:27], s[20:21], v[48:49] op_sel:[0,0,1] op_sel_hi:[1,0,0] neg_lo:[0,0,1] neg_hi:[0,0,1]
	v_pk_mul_f32 v[10:11], v[6:7], s[22:23] op_sel_hi:[1,0]
	v_mov_b32_e32 v52, v50
	v_pk_fma_f32 v[40:41], v[38:39], s[20:21], v[10:11] op_sel:[0,0,1] op_sel_hi:[1,0,0]
	v_pk_fma_f32 v[10:11], v[38:39], s[20:21], v[10:11] op_sel:[0,0,1] op_sel_hi:[1,0,0] neg_lo:[0,0,1] neg_hi:[0,0,1]
	v_mov_b32_e32 v42, v40
	v_mov_b32_e32 v43, v11
	v_pk_add_f32 v[24:25], v[42:43], v[24:25]
	v_pk_add_f32 v[42:43], v[28:29], v[8:9]
	v_pk_add_f32 v[8:9], v[28:29], v[8:9] neg_lo:[0,1] neg_hi:[0,1]
	v_mov_b32_e32 v53, v49
	v_pk_mul_f32 v[28:29], v[8:9], s[26:27] op_sel_hi:[1,0]
	v_pk_mul_f32 v[94:95], v[14:15], s[30:31] op_sel_hi:[1,0]
	v_pk_fma_f32 v[44:45], v[42:43], s[24:25], v[28:29] op_sel:[0,0,1] op_sel_hi:[1,0,0]
	v_pk_fma_f32 v[28:29], v[42:43], s[24:25], v[28:29] op_sel:[0,0,1] op_sel_hi:[1,0,0] neg_lo:[0,0,1] neg_hi:[0,0,1]
	v_mov_b32_e32 v46, v44
	v_mov_b32_e32 v47, v29
	v_pk_add_f32 v[24:25], v[46:47], v[24:25]
	ds_write2_b64 v60, v[2:3], v[24:25] offset1:156
	v_pk_mul_f32 v[2:3], v[16:17], s[28:29] op_sel_hi:[1,0]
	s_mov_b32 s28, 0x3e903f40
	v_pk_fma_f32 v[24:25], v[4:5], s[2:3], v[2:3] op_sel:[0,0,1] op_sel_hi:[1,0,0]
	v_pk_fma_f32 v[46:47], v[4:5], s[2:3], v[2:3] op_sel:[0,0,1] op_sel_hi:[1,0,0] neg_lo:[0,0,1] neg_hi:[0,0,1]
	v_mov_b32_e32 v2, v24
	v_mov_b32_e32 v3, v47
	v_pk_add_f32 v[2:3], v[0:1], v[2:3]
	v_pk_mul_f32 v[76:77], v[14:15], s[28:29] op_sel_hi:[1,0]
	v_pk_add_f32 v[2:3], v[52:53], v[2:3]
	v_pk_mul_f32 v[52:53], v[12:13], s[28:29] op_sel_hi:[1,0]
	v_pk_fma_f32 v[78:79], v[26:27], s[24:25], v[76:77] op_sel:[0,0,1] op_sel_hi:[1,0,0]
	v_pk_fma_f32 v[54:55], v[34:35], s[24:25], v[52:53] op_sel:[0,0,1] op_sel_hi:[1,0,0]
	v_pk_fma_f32 v[52:53], v[34:35], s[24:25], v[52:53] op_sel:[0,0,1] op_sel_hi:[1,0,0] neg_lo:[0,0,1] neg_hi:[0,0,1]
	v_mov_b32_e32 v56, v54
	v_mov_b32_e32 v57, v53
	v_pk_add_f32 v[2:3], v[56:57], v[2:3]
	v_pk_mul_f32 v[56:57], v[6:7], s[30:31] op_sel_hi:[1,0]
	v_pk_fma_f32 v[76:77], v[26:27], s[24:25], v[76:77] op_sel:[0,0,1] op_sel_hi:[1,0,0] neg_lo:[0,0,1] neg_hi:[0,0,1]
	v_pk_fma_f32 v[58:59], v[38:39], s[4:5], v[56:57] op_sel:[0,0,1] op_sel_hi:[1,0,0]
	v_pk_fma_f32 v[56:57], v[38:39], s[4:5], v[56:57] op_sel:[0,0,1] op_sel_hi:[1,0,0] neg_lo:[0,0,1] neg_hi:[0,0,1]
	v_mov_b32_e32 v66, v58
	v_mov_b32_e32 v67, v57
	v_pk_add_f32 v[2:3], v[66:67], v[2:3]
	v_pk_mul_f32 v[66:67], v[8:9], s[34:35] op_sel_hi:[1,0]
	v_mov_b32_e32 v80, v78
	v_pk_fma_f32 v[68:69], v[42:43], s[0:1], v[66:67] op_sel:[0,0,1] op_sel_hi:[1,0,0]
	v_pk_fma_f32 v[66:67], v[42:43], s[0:1], v[66:67] op_sel:[0,0,1] op_sel_hi:[1,0,0] neg_lo:[0,0,1] neg_hi:[0,0,1]
	v_mov_b32_e32 v70, v68
	v_mov_b32_e32 v71, v67
	v_pk_add_f32 v[2:3], v[70:71], v[2:3]
	v_pk_mul_f32 v[70:71], v[16:17], s[14:15] op_sel_hi:[1,0]
	v_mov_b32_e32 v81, v77
	v_pk_fma_f32 v[72:73], v[4:5], s[4:5], v[70:71] op_sel:[0,0,1] op_sel_hi:[1,0,0]
	v_pk_fma_f32 v[70:71], v[4:5], s[4:5], v[70:71] op_sel:[0,0,1] op_sel_hi:[1,0,0] neg_lo:[0,0,1] neg_hi:[0,0,1]
	v_mov_b32_e32 v74, v72
	v_mov_b32_e32 v75, v71
	v_pk_add_f32 v[74:75], v[0:1], v[74:75]
	s_mov_b32 s28, 0x3f68dda4
	v_pk_add_f32 v[74:75], v[80:81], v[74:75]
	v_pk_mul_f32 v[80:81], v[12:13], s[28:29] op_sel_hi:[1,0]
	v_pk_fma_f32 v[96:97], v[26:27], s[4:5], v[94:95] op_sel:[0,0,1] op_sel_hi:[1,0,0]
	v_pk_fma_f32 v[82:83], v[34:35], s[2:3], v[80:81] op_sel:[0,0,1] op_sel_hi:[1,0,0]
	v_pk_fma_f32 v[80:81], v[34:35], s[2:3], v[80:81] op_sel:[0,0,1] op_sel_hi:[1,0,0] neg_lo:[0,0,1] neg_hi:[0,0,1]
	v_mov_b32_e32 v84, v82
	v_mov_b32_e32 v85, v81
	v_pk_add_f32 v[74:75], v[84:85], v[74:75]
	v_pk_mul_f32 v[84:85], v[6:7], s[18:19] op_sel_hi:[1,0]
	v_pk_fma_f32 v[94:95], v[26:27], s[4:5], v[94:95] op_sel:[0,0,1] op_sel_hi:[1,0,0] neg_lo:[0,0,1] neg_hi:[0,0,1]
	v_pk_fma_f32 v[86:87], v[38:39], s[0:1], v[84:85] op_sel:[0,0,1] op_sel_hi:[1,0,0]
	v_pk_fma_f32 v[84:85], v[38:39], s[0:1], v[84:85] op_sel:[0,0,1] op_sel_hi:[1,0,0] neg_lo:[0,0,1] neg_hi:[0,0,1]
	v_mov_b32_e32 v88, v86
	v_mov_b32_e32 v89, v85
	v_pk_add_f32 v[74:75], v[88:89], v[74:75]
	v_pk_mul_f32 v[88:89], v[8:9], s[22:23] op_sel_hi:[1,0]
	v_mov_b32_e32 v98, v96
	v_pk_fma_f32 v[90:91], v[42:43], s[20:21], v[88:89] op_sel:[0,0,1] op_sel_hi:[1,0,0]
	v_pk_fma_f32 v[88:89], v[42:43], s[20:21], v[88:89] op_sel:[0,0,1] op_sel_hi:[1,0,0] neg_lo:[0,0,1] neg_hi:[0,0,1]
	v_mov_b32_e32 v92, v90
	v_mov_b32_e32 v93, v89
	v_pk_add_f32 v[74:75], v[92:93], v[74:75]
	ds_write2_b64 v61, v[2:3], v[74:75] offset0:56 offset1:212
	v_pk_mul_f32 v[2:3], v[16:17], s[22:23] op_sel_hi:[1,0]
	v_mov_b32_e32 v99, v95
	v_pk_fma_f32 v[74:75], v[4:5], s[20:21], v[2:3] op_sel:[0,0,1] op_sel_hi:[1,0,0]
	v_pk_fma_f32 v[2:3], v[4:5], s[20:21], v[2:3] op_sel:[0,0,1] op_sel_hi:[1,0,0] neg_lo:[0,0,1] neg_hi:[0,0,1]
	v_mov_b32_e32 v92, v74
	v_mov_b32_e32 v93, v3
	v_pk_add_f32 v[92:93], v[0:1], v[92:93]
	v_pk_mul_f32 v[16:17], v[16:17], s[26:27] op_sel_hi:[1,0]
	v_pk_add_f32 v[92:93], v[98:99], v[92:93]
	v_pk_mul_f32 v[98:99], v[12:13], s[18:19] op_sel_hi:[1,0]
	v_pk_mul_f32 v[14:15], v[14:15], s[34:35] op_sel_hi:[1,0]
	v_pk_fma_f32 v[100:101], v[34:35], s[0:1], v[98:99] op_sel:[0,0,1] op_sel_hi:[1,0,0]
	v_pk_fma_f32 v[98:99], v[34:35], s[0:1], v[98:99] op_sel:[0,0,1] op_sel_hi:[1,0,0] neg_lo:[0,0,1] neg_hi:[0,0,1]
	v_mov_b32_e32 v102, v100
	v_mov_b32_e32 v103, v99
	v_pk_add_f32 v[92:93], v[102:103], v[92:93]
	v_pk_mul_f32 v[102:103], v[6:7], s[26:27] op_sel_hi:[1,0]
	v_pk_mul_f32 v[12:13], v[12:13], s[22:23] op_sel_hi:[1,0]
	v_pk_fma_f32 v[104:105], v[38:39], s[24:25], v[102:103] op_sel:[0,0,1] op_sel_hi:[1,0,0]
	v_pk_fma_f32 v[102:103], v[38:39], s[24:25], v[102:103] op_sel:[0,0,1] op_sel_hi:[1,0,0] neg_lo:[0,0,1] neg_hi:[0,0,1]
	v_mov_b32_e32 v106, v104
	v_mov_b32_e32 v107, v103
	;; [unrolled: 7-line block ×3, first 2 shown]
	v_pk_add_f32 v[92:93], v[110:111], v[92:93]
	ds_write_b64 v60, v[92:93] offset:4992
	v_pk_fma_f32 v[92:93], v[4:5], s[24:25], v[16:17] op_sel:[0,0,1] op_sel_hi:[1,0,0]
	v_pk_fma_f32 v[4:5], v[4:5], s[24:25], v[16:17] op_sel:[0,0,1] op_sel_hi:[1,0,0] neg_lo:[0,0,1] neg_hi:[0,0,1]
	v_mov_b32_e32 v16, v92
	v_mov_b32_e32 v17, v5
	v_pk_fma_f32 v[110:111], v[26:27], s[0:1], v[14:15] op_sel:[0,0,1] op_sel_hi:[1,0,0]
	v_pk_fma_f32 v[14:15], v[26:27], s[0:1], v[14:15] op_sel:[0,0,1] op_sel_hi:[1,0,0] neg_lo:[0,0,1] neg_hi:[0,0,1]
	v_pk_add_f32 v[16:17], v[0:1], v[16:17]
	v_mov_b32_e32 v26, v110
	v_mov_b32_e32 v27, v15
	v_pk_add_f32 v[16:17], v[26:27], v[16:17]
	v_pk_fma_f32 v[26:27], v[34:35], s[20:21], v[12:13] op_sel:[0,0,1] op_sel_hi:[1,0,0]
	v_pk_fma_f32 v[12:13], v[34:35], s[20:21], v[12:13] op_sel:[0,0,1] op_sel_hi:[1,0,0] neg_lo:[0,0,1] neg_hi:[0,0,1]
	v_mov_b32_e32 v34, v26
	v_mov_b32_e32 v35, v13
	;; [unrolled: 1-line block ×4, first 2 shown]
	v_pk_add_f32 v[16:17], v[34:35], v[16:17]
	v_pk_fma_f32 v[34:35], v[38:39], s[2:3], v[6:7] op_sel:[0,0,1] op_sel_hi:[1,0,0]
	v_pk_fma_f32 v[6:7], v[38:39], s[2:3], v[6:7] op_sel:[0,0,1] op_sel_hi:[1,0,0] neg_lo:[0,0,1] neg_hi:[0,0,1]
	v_pk_add_f32 v[4:5], v[0:1], v[4:5]
	v_mov_b32_e32 v15, v111
	v_pk_add_f32 v[2:3], v[0:1], v[2:3]
	v_mov_b32_e32 v95, v97
	v_mov_b32_e32 v38, v34
	v_mov_b32_e32 v39, v7
	v_pk_mul_f32 v[8:9], v[8:9], s[14:15] op_sel_hi:[1,0]
	v_pk_add_f32 v[4:5], v[14:15], v[4:5]
	v_mov_b32_e32 v13, v27
	v_pk_add_f32 v[2:3], v[94:95], v[2:3]
	v_mov_b32_e32 v99, v101
	v_pk_add_f32 v[16:17], v[38:39], v[16:17]
	v_pk_fma_f32 v[38:39], v[42:43], s[4:5], v[8:9] op_sel:[0,0,1] op_sel_hi:[1,0,0]
	v_pk_fma_f32 v[8:9], v[42:43], s[4:5], v[8:9] op_sel:[0,0,1] op_sel_hi:[1,0,0] neg_lo:[0,0,1] neg_hi:[0,0,1]
	v_pk_add_f32 v[4:5], v[12:13], v[4:5]
	v_mov_b32_e32 v7, v35
	v_pk_add_f32 v[2:3], v[98:99], v[2:3]
	v_mov_b32_e32 v103, v105
	v_mov_b32_e32 v42, v38
	;; [unrolled: 1-line block ×3, first 2 shown]
	v_pk_add_f32 v[4:5], v[6:7], v[4:5]
	v_mov_b32_e32 v9, v39
	v_pk_add_f32 v[2:3], v[102:103], v[2:3]
	v_mov_b32_e32 v107, v109
	v_pk_add_f32 v[16:17], v[42:43], v[16:17]
	v_pk_add_f32 v[4:5], v[8:9], v[4:5]
	;; [unrolled: 1-line block ×3, first 2 shown]
	v_add_u32_e32 v2, 0x1c00, v60
	v_mov_b32_e32 v71, v73
	v_mov_b32_e32 v47, v25
	v_mov_b32_e32 v19, v21
	ds_write_b64 v60, v[16:17] offset:6240
	ds_write2_b64 v2, v[4:5], v[6:7] offset0:40 offset1:196
	v_pk_add_f32 v[4:5], v[0:1], v[70:71]
	v_mov_b32_e32 v77, v79
	v_pk_add_f32 v[6:7], v[0:1], v[46:47]
	v_mov_b32_e32 v49, v51
	;; [unrolled: 2-line block ×12, first 2 shown]
	v_pk_add_f32 v[4:5], v[88:89], v[4:5]
	v_pk_add_f32 v[6:7], v[66:67], v[6:7]
	v_add_u32_e32 v3, 0x2400, v60
	v_pk_add_f32 v[0:1], v[28:29], v[0:1]
	ds_write2_b64 v3, v[4:5], v[6:7] offset0:96 offset1:252
	ds_write_b64 v60, v[0:1] offset:12480
	s_waitcnt lgkmcnt(0)
	s_barrier
	s_and_b64 exec, exec, s[6:7]
	s_cbranch_execz .LBB0_31
; %bb.30:
	global_load_dwordx2 v[12:13], v60, s[12:13]
	global_load_dwordx2 v[14:15], v60, s[12:13] offset:1056
	global_load_dwordx2 v[16:17], v60, s[12:13] offset:2112
	;; [unrolled: 1-line block ×3, first 2 shown]
	v_mov_b32_e32 v61, 0
	s_movk_i32 s2, 0x1000
	v_lshl_add_u64 v[0:1], s[12:13], 0, v[60:61]
	v_add_co_u32_e32 v26, vcc, s2, v0
	v_add_u32_e32 v4, 0x400, v60
	s_nop 0
	v_addc_co_u32_e32 v27, vcc, 0, v1, vcc
	global_load_dwordx2 v[28:29], v[26:27], off offset:128
	v_add_u32_e32 v8, 0xc00, v60
	ds_read_b64 v[20:21], v60
	ds_read2_b64 v[4:7], v4 offset0:4 offset1:136
	ds_read2_b64 v[8:11], v8 offset0:12 offset1:144
	global_load_dwordx2 v[36:37], v[26:27], off offset:1184
	v_mad_u64_u32 v[24:25], s[0:1], s10, v64, 0
	v_mad_u64_u32 v[30:31], s[4:5], s8, v62, 0
	v_mov_b32_e32 v32, v25
	v_mov_b32_e32 v34, v31
	v_mad_u64_u32 v[32:33], s[4:5], s11, v64, v[32:33]
	v_mad_u64_u32 v[34:35], s[4:5], s9, v62, v[34:35]
	v_mov_b32_e32 v25, v32
	v_mov_b32_e32 v31, v34
	global_load_dwordx2 v[32:33], v[26:27], off offset:2240
	global_load_dwordx2 v[34:35], v[26:27], off offset:3296
	v_mov_b32_e32 v22, s16
	v_mov_b32_e32 v23, s17
	v_lshl_add_u64 v[22:23], v[24:25], 3, v[22:23]
	v_lshl_add_u64 v[22:23], v[30:31], 3, v[22:23]
	s_mov_b32 s0, 0x58e9ebb6
	s_mov_b32 s1, 0x3f431877
	v_add_co_u32_e32 v38, vcc, s3, v0
	v_mov_b32_e32 v40, 0x420
	s_nop 0
	v_addc_co_u32_e32 v39, vcc, 0, v1, vcc
	s_mul_i32 s2, s9, 0x420
	v_mad_u64_u32 v[24:25], s[4:5], s8, v40, v[22:23]
	v_add_u32_e32 v25, s2, v25
	v_mad_u64_u32 v[26:27], s[4:5], s8, v40, v[24:25]
	v_add_u32_e32 v27, s2, v27
	s_movk_i32 s3, 0x3000
	v_add_co_u32_e32 v0, vcc, s3, v0
	s_waitcnt vmcnt(7) lgkmcnt(2)
	v_mul_f32_e32 v30, v21, v13
	v_mul_f32_e32 v13, v20, v13
	s_waitcnt vmcnt(6) lgkmcnt(1)
	v_mul_f32_e32 v31, v5, v15
	v_mul_f32_e32 v15, v4, v15
	s_waitcnt vmcnt(5)
	v_mul_f32_e32 v41, v7, v17
	v_mul_f32_e32 v17, v6, v17
	v_fmac_f32_e32 v30, v20, v12
	v_fma_f32 v12, v12, v21, -v13
	v_fmac_f32_e32 v31, v4, v14
	v_fma_f32 v14, v14, v5, -v15
	;; [unrolled: 2-line block ×3, first 2 shown]
	v_cvt_f64_f32_e32 v[4:5], v30
	v_cvt_f64_f32_e32 v[6:7], v12
	;; [unrolled: 1-line block ×3, first 2 shown]
	v_mul_f64 v[4:5], v[4:5], s[0:1]
	v_mul_f64 v[6:7], v[6:7], s[0:1]
	;; [unrolled: 1-line block ×3, first 2 shown]
	v_cvt_f32_f64_e32 v4, v[4:5]
	v_cvt_f32_f64_e32 v5, v[6:7]
	;; [unrolled: 1-line block ×3, first 2 shown]
	global_load_dwordx2 v[12:13], v[38:39], off offset:256
	s_waitcnt vmcnt(5) lgkmcnt(0)
	v_mul_f32_e32 v42, v9, v19
	v_cvt_f64_f32_e32 v[14:15], v14
	v_cvt_f64_f32_e32 v[16:17], v41
	;; [unrolled: 1-line block ×3, first 2 shown]
	v_fmac_f32_e32 v42, v8, v18
	v_mul_f64 v[14:15], v[14:15], s[0:1]
	v_mul_f64 v[16:17], v[16:17], s[0:1]
	;; [unrolled: 1-line block ×3, first 2 shown]
	v_cvt_f32_f64_e32 v7, v[14:15]
	v_cvt_f32_f64_e32 v14, v[16:17]
	;; [unrolled: 1-line block ×3, first 2 shown]
	global_store_dwordx2 v[22:23], v[4:5], off
	global_store_dwordx2 v[24:25], v[6:7], off
	;; [unrolled: 1-line block ×3, first 2 shown]
	v_cvt_f64_f32_e32 v[4:5], v42
	v_mul_f64 v[4:5], v[4:5], s[0:1]
	v_cvt_f32_f64_e32 v4, v[4:5]
	v_mul_f32_e32 v5, v8, v19
	v_fma_f32 v5, v18, v9, -v5
	v_cvt_f64_f32_e32 v[6:7], v5
	v_mul_f64 v[6:7], v[6:7], s[0:1]
	v_mad_u64_u32 v[14:15], s[4:5], s8, v40, v[26:27]
	v_cvt_f32_f64_e32 v5, v[6:7]
	v_add_u32_e32 v15, s2, v15
	global_load_dwordx2 v[8:9], v[38:39], off offset:1312
	global_load_dwordx2 v[18:19], v[38:39], off offset:3424
	v_addc_co_u32_e32 v1, vcc, 0, v1, vcc
	global_store_dwordx2 v[14:15], v[4:5], off
	s_waitcnt vmcnt(10)
	v_mul_f32_e32 v4, v11, v29
	v_fmac_f32_e32 v4, v10, v28
	v_cvt_f64_f32_e32 v[4:5], v4
	v_mul_f64 v[4:5], v[4:5], s[0:1]
	v_cvt_f32_f64_e32 v16, v[4:5]
	v_mul_f32_e32 v4, v10, v29
	v_fma_f32 v4, v28, v11, -v4
	global_load_dwordx2 v[10:11], v[38:39], off offset:2368
	v_cvt_f64_f32_e32 v[4:5], v4
	v_mul_f64 v[4:5], v[4:5], s[0:1]
	v_cvt_f32_f64_e32 v17, v[4:5]
	v_add_u32_e32 v4, 0x1400, v60
	ds_read2_b64 v[4:7], v4 offset0:20 offset1:152
	v_mad_u64_u32 v[14:15], s[4:5], s8, v40, v[14:15]
	v_add_u32_e32 v15, s2, v15
	global_store_dwordx2 v[14:15], v[16:17], off
	s_waitcnt vmcnt(11) lgkmcnt(0)
	v_mul_f32_e32 v16, v5, v37
	v_fmac_f32_e32 v16, v4, v36
	v_mul_f32_e32 v4, v4, v37
	v_fma_f32 v4, v36, v5, -v4
	v_cvt_f64_f32_e32 v[16:17], v16
	v_cvt_f64_f32_e32 v[4:5], v4
	v_mul_f64 v[16:17], v[16:17], s[0:1]
	v_mul_f64 v[4:5], v[4:5], s[0:1]
	v_cvt_f32_f64_e32 v16, v[16:17]
	v_cvt_f32_f64_e32 v17, v[4:5]
	s_waitcnt vmcnt(10)
	v_mul_f32_e32 v4, v7, v33
	v_fmac_f32_e32 v4, v6, v32
	v_mad_u64_u32 v[14:15], s[4:5], s8, v40, v[14:15]
	v_cvt_f64_f32_e32 v[4:5], v4
	v_add_u32_e32 v15, s2, v15
	v_mul_f64 v[4:5], v[4:5], s[0:1]
	global_store_dwordx2 v[14:15], v[16:17], off
	v_cvt_f32_f64_e32 v16, v[4:5]
	v_mul_f32_e32 v4, v6, v33
	v_fma_f32 v4, v32, v7, -v4
	v_cvt_f64_f32_e32 v[4:5], v4
	v_mul_f64 v[4:5], v[4:5], s[0:1]
	v_cvt_f32_f64_e32 v17, v[4:5]
	ds_read2_b64 v[4:7], v2 offset0:28 offset1:160
	v_mad_u64_u32 v[14:15], s[4:5], s8, v40, v[14:15]
	v_add_u32_e32 v15, s2, v15
	global_store_dwordx2 v[14:15], v[16:17], off
	s_waitcnt vmcnt(11) lgkmcnt(0)
	v_mul_f32_e32 v2, v5, v35
	v_fmac_f32_e32 v2, v4, v34
	v_cvt_f64_f32_e32 v[16:17], v2
	v_mul_f32_e32 v2, v4, v35
	v_fma_f32 v2, v34, v5, -v2
	v_cvt_f64_f32_e32 v[4:5], v2
	s_waitcnt vmcnt(10)
	v_mul_f32_e32 v2, v7, v13
	v_mul_f64 v[16:17], v[16:17], s[0:1]
	v_mul_f64 v[4:5], v[4:5], s[0:1]
	v_fmac_f32_e32 v2, v6, v12
	v_cvt_f32_f64_e32 v16, v[16:17]
	v_cvt_f32_f64_e32 v17, v[4:5]
	v_mad_u64_u32 v[14:15], s[4:5], s8, v40, v[14:15]
	v_cvt_f64_f32_e32 v[4:5], v2
	v_mul_f32_e32 v2, v6, v13
	v_add_u32_e32 v15, s2, v15
	v_mul_f64 v[4:5], v[4:5], s[0:1]
	v_fma_f32 v2, v12, v7, -v2
	global_store_dwordx2 v[14:15], v[16:17], off
	v_cvt_f32_f64_e32 v16, v[4:5]
	v_cvt_f64_f32_e32 v[4:5], v2
	v_mul_f64 v[4:5], v[4:5], s[0:1]
	v_cvt_f32_f64_e32 v17, v[4:5]
	ds_read2_b64 v[2:5], v3 offset0:36 offset1:168
	v_mad_u64_u32 v[6:7], s[4:5], s8, v40, v[14:15]
	v_add_u32_e32 v7, s2, v7
	global_store_dwordx2 v[6:7], v[16:17], off
	s_waitcnt vmcnt(8) lgkmcnt(0)
	v_mul_f32_e32 v12, v3, v9
	v_fmac_f32_e32 v12, v2, v8
	v_mul_f32_e32 v2, v2, v9
	v_fma_f32 v2, v8, v3, -v2
	v_cvt_f64_f32_e32 v[12:13], v12
	v_cvt_f64_f32_e32 v[2:3], v2
	v_mul_f64 v[12:13], v[12:13], s[0:1]
	v_mul_f64 v[2:3], v[2:3], s[0:1]
	v_cvt_f32_f64_e32 v12, v[12:13]
	v_cvt_f32_f64_e32 v13, v[2:3]
	v_mad_u64_u32 v[6:7], s[4:5], s8, v40, v[6:7]
	s_waitcnt vmcnt(5)
	v_mul_f32_e32 v2, v5, v11
	v_fmac_f32_e32 v2, v4, v10
	v_cvt_f64_f32_e32 v[2:3], v2
	v_mul_f64 v[2:3], v[2:3], s[0:1]
	v_cvt_f32_f64_e32 v8, v[2:3]
	v_mul_f32_e32 v2, v4, v11
	v_fma_f32 v2, v10, v5, -v2
	v_cvt_f64_f32_e32 v[2:3], v2
	v_mul_f64 v[2:3], v[2:3], s[0:1]
	v_cvt_f32_f64_e32 v9, v[2:3]
	v_add_u32_e32 v2, 0x2c00, v60
	ds_read2_b64 v[2:5], v2 offset0:44 offset1:176
	v_add_u32_e32 v7, s2, v7
	global_store_dwordx2 v[6:7], v[12:13], off
	v_mad_u64_u32 v[6:7], s[4:5], s8, v40, v[6:7]
	v_add_u32_e32 v7, s2, v7
	global_store_dwordx2 v[6:7], v[8:9], off
	s_waitcnt lgkmcnt(0)
	v_mul_f32_e32 v8, v3, v19
	v_fmac_f32_e32 v8, v2, v18
	v_mul_f32_e32 v2, v2, v19
	v_fma_f32 v2, v18, v3, -v2
	v_cvt_f64_f32_e32 v[8:9], v8
	v_cvt_f64_f32_e32 v[2:3], v2
	v_mul_f64 v[8:9], v[8:9], s[0:1]
	v_mul_f64 v[2:3], v[2:3], s[0:1]
	v_cvt_f32_f64_e32 v8, v[8:9]
	v_cvt_f32_f64_e32 v9, v[2:3]
	v_mad_u64_u32 v[2:3], s[4:5], s8, v40, v[6:7]
	v_add_u32_e32 v3, s2, v3
	global_store_dwordx2 v[2:3], v[8:9], off
	global_load_dwordx2 v[0:1], v[0:1], off offset:384
	s_waitcnt vmcnt(0)
	v_mul_f32_e32 v6, v5, v1
	v_mul_f32_e32 v1, v4, v1
	v_fmac_f32_e32 v6, v4, v0
	v_fma_f32 v0, v0, v5, -v1
	v_cvt_f64_f32_e32 v[6:7], v6
	v_cvt_f64_f32_e32 v[0:1], v0
	v_mul_f64 v[6:7], v[6:7], s[0:1]
	v_mul_f64 v[0:1], v[0:1], s[0:1]
	v_cvt_f32_f64_e32 v6, v[6:7]
	v_cvt_f32_f64_e32 v7, v[0:1]
	v_mad_u64_u32 v[0:1], s[0:1], s8, v40, v[2:3]
	v_add_u32_e32 v1, s2, v1
	global_store_dwordx2 v[0:1], v[6:7], off
.LBB0_31:
	s_endpgm
	.section	.rodata,"a",@progbits
	.p2align	6, 0x0
	.amdhsa_kernel bluestein_single_back_len1716_dim1_sp_op_CI_CI
		.amdhsa_group_segment_fixed_size 13728
		.amdhsa_private_segment_fixed_size 0
		.amdhsa_kernarg_size 104
		.amdhsa_user_sgpr_count 2
		.amdhsa_user_sgpr_dispatch_ptr 0
		.amdhsa_user_sgpr_queue_ptr 0
		.amdhsa_user_sgpr_kernarg_segment_ptr 1
		.amdhsa_user_sgpr_dispatch_id 0
		.amdhsa_user_sgpr_kernarg_preload_length 0
		.amdhsa_user_sgpr_kernarg_preload_offset 0
		.amdhsa_user_sgpr_private_segment_size 0
		.amdhsa_uses_dynamic_stack 0
		.amdhsa_enable_private_segment 0
		.amdhsa_system_sgpr_workgroup_id_x 1
		.amdhsa_system_sgpr_workgroup_id_y 0
		.amdhsa_system_sgpr_workgroup_id_z 0
		.amdhsa_system_sgpr_workgroup_info 0
		.amdhsa_system_vgpr_workitem_id 0
		.amdhsa_next_free_vgpr 200
		.amdhsa_next_free_sgpr 56
		.amdhsa_accum_offset 200
		.amdhsa_reserve_vcc 1
		.amdhsa_float_round_mode_32 0
		.amdhsa_float_round_mode_16_64 0
		.amdhsa_float_denorm_mode_32 3
		.amdhsa_float_denorm_mode_16_64 3
		.amdhsa_dx10_clamp 1
		.amdhsa_ieee_mode 1
		.amdhsa_fp16_overflow 0
		.amdhsa_tg_split 0
		.amdhsa_exception_fp_ieee_invalid_op 0
		.amdhsa_exception_fp_denorm_src 0
		.amdhsa_exception_fp_ieee_div_zero 0
		.amdhsa_exception_fp_ieee_overflow 0
		.amdhsa_exception_fp_ieee_underflow 0
		.amdhsa_exception_fp_ieee_inexact 0
		.amdhsa_exception_int_div_zero 0
	.end_amdhsa_kernel
	.text
.Lfunc_end0:
	.size	bluestein_single_back_len1716_dim1_sp_op_CI_CI, .Lfunc_end0-bluestein_single_back_len1716_dim1_sp_op_CI_CI
                                        ; -- End function
	.section	.AMDGPU.csdata,"",@progbits
; Kernel info:
; codeLenInByte = 16296
; NumSgprs: 62
; NumVgprs: 200
; NumAgprs: 0
; TotalNumVgprs: 200
; ScratchSize: 0
; MemoryBound: 0
; FloatMode: 240
; IeeeMode: 1
; LDSByteSize: 13728 bytes/workgroup (compile time only)
; SGPRBlocks: 7
; VGPRBlocks: 24
; NumSGPRsForWavesPerEU: 62
; NumVGPRsForWavesPerEU: 200
; AccumOffset: 200
; Occupancy: 2
; WaveLimiterHint : 1
; COMPUTE_PGM_RSRC2:SCRATCH_EN: 0
; COMPUTE_PGM_RSRC2:USER_SGPR: 2
; COMPUTE_PGM_RSRC2:TRAP_HANDLER: 0
; COMPUTE_PGM_RSRC2:TGID_X_EN: 1
; COMPUTE_PGM_RSRC2:TGID_Y_EN: 0
; COMPUTE_PGM_RSRC2:TGID_Z_EN: 0
; COMPUTE_PGM_RSRC2:TIDIG_COMP_CNT: 0
; COMPUTE_PGM_RSRC3_GFX90A:ACCUM_OFFSET: 49
; COMPUTE_PGM_RSRC3_GFX90A:TG_SPLIT: 0
	.text
	.p2alignl 6, 3212836864
	.fill 256, 4, 3212836864
	.type	__hip_cuid_76ccd09b1af946da,@object ; @__hip_cuid_76ccd09b1af946da
	.section	.bss,"aw",@nobits
	.globl	__hip_cuid_76ccd09b1af946da
__hip_cuid_76ccd09b1af946da:
	.byte	0                               ; 0x0
	.size	__hip_cuid_76ccd09b1af946da, 1

	.ident	"AMD clang version 19.0.0git (https://github.com/RadeonOpenCompute/llvm-project roc-6.4.0 25133 c7fe45cf4b819c5991fe208aaa96edf142730f1d)"
	.section	".note.GNU-stack","",@progbits
	.addrsig
	.addrsig_sym __hip_cuid_76ccd09b1af946da
	.amdgpu_metadata
---
amdhsa.kernels:
  - .agpr_count:     0
    .args:
      - .actual_access:  read_only
        .address_space:  global
        .offset:         0
        .size:           8
        .value_kind:     global_buffer
      - .actual_access:  read_only
        .address_space:  global
        .offset:         8
        .size:           8
        .value_kind:     global_buffer
      - .actual_access:  read_only
        .address_space:  global
        .offset:         16
        .size:           8
        .value_kind:     global_buffer
      - .actual_access:  read_only
        .address_space:  global
        .offset:         24
        .size:           8
        .value_kind:     global_buffer
      - .actual_access:  read_only
        .address_space:  global
        .offset:         32
        .size:           8
        .value_kind:     global_buffer
      - .offset:         40
        .size:           8
        .value_kind:     by_value
      - .address_space:  global
        .offset:         48
        .size:           8
        .value_kind:     global_buffer
      - .address_space:  global
        .offset:         56
        .size:           8
        .value_kind:     global_buffer
      - .address_space:  global
        .offset:         64
        .size:           8
        .value_kind:     global_buffer
      - .address_space:  global
        .offset:         72
        .size:           8
        .value_kind:     global_buffer
      - .offset:         80
        .size:           4
        .value_kind:     by_value
      - .address_space:  global
        .offset:         88
        .size:           8
        .value_kind:     global_buffer
      - .address_space:  global
        .offset:         96
        .size:           8
        .value_kind:     global_buffer
    .group_segment_fixed_size: 13728
    .kernarg_segment_align: 8
    .kernarg_segment_size: 104
    .language:       OpenCL C
    .language_version:
      - 2
      - 0
    .max_flat_workgroup_size: 156
    .name:           bluestein_single_back_len1716_dim1_sp_op_CI_CI
    .private_segment_fixed_size: 0
    .sgpr_count:     62
    .sgpr_spill_count: 0
    .symbol:         bluestein_single_back_len1716_dim1_sp_op_CI_CI.kd
    .uniform_work_group_size: 1
    .uses_dynamic_stack: false
    .vgpr_count:     200
    .vgpr_spill_count: 0
    .wavefront_size: 64
amdhsa.target:   amdgcn-amd-amdhsa--gfx950
amdhsa.version:
  - 1
  - 2
...

	.end_amdgpu_metadata
